;; amdgpu-corpus repo=ROCm/rocFFT kind=compiled arch=gfx950 opt=O3
	.text
	.amdgcn_target "amdgcn-amd-amdhsa--gfx950"
	.amdhsa_code_object_version 6
	.protected	fft_rtc_back_len1650_factors_11_2_3_5_5_wgs_110_tpt_110_halfLds_dp_ip_CI_unitstride_sbrr_C2R_dirReg ; -- Begin function fft_rtc_back_len1650_factors_11_2_3_5_5_wgs_110_tpt_110_halfLds_dp_ip_CI_unitstride_sbrr_C2R_dirReg
	.globl	fft_rtc_back_len1650_factors_11_2_3_5_5_wgs_110_tpt_110_halfLds_dp_ip_CI_unitstride_sbrr_C2R_dirReg
	.p2align	8
	.type	fft_rtc_back_len1650_factors_11_2_3_5_5_wgs_110_tpt_110_halfLds_dp_ip_CI_unitstride_sbrr_C2R_dirReg,@function
fft_rtc_back_len1650_factors_11_2_3_5_5_wgs_110_tpt_110_halfLds_dp_ip_CI_unitstride_sbrr_C2R_dirReg: ; @fft_rtc_back_len1650_factors_11_2_3_5_5_wgs_110_tpt_110_halfLds_dp_ip_CI_unitstride_sbrr_C2R_dirReg
; %bb.0:
	s_load_dwordx2 s[8:9], s[0:1], 0x50
	s_load_dwordx4 s[4:7], s[0:1], 0x0
	s_load_dwordx2 s[10:11], s[0:1], 0x18
	v_mul_u32_u24_e32 v1, 0x254, v0
	v_add_u32_sdwa v6, s2, v1 dst_sel:DWORD dst_unused:UNUSED_PAD src0_sel:DWORD src1_sel:WORD_1
	v_mov_b32_e32 v4, 0
	s_waitcnt lgkmcnt(0)
	v_cmp_lt_u64_e64 s[2:3], s[6:7], 2
	v_mov_b32_e32 v7, v4
	s_and_b64 vcc, exec, s[2:3]
	v_mov_b64_e32 v[2:3], 0
	s_cbranch_vccnz .LBB0_8
; %bb.1:
	s_load_dwordx2 s[2:3], s[0:1], 0x10
	s_add_u32 s12, s10, 8
	s_addc_u32 s13, s11, 0
	s_mov_b64 s[14:15], 1
	v_mov_b64_e32 v[2:3], 0
	s_waitcnt lgkmcnt(0)
	s_add_u32 s16, s2, 8
	s_addc_u32 s17, s3, 0
.LBB0_2:                                ; =>This Inner Loop Header: Depth=1
	s_load_dwordx2 s[18:19], s[16:17], 0x0
                                        ; implicit-def: $vgpr8_vgpr9
	s_waitcnt lgkmcnt(0)
	v_or_b32_e32 v5, s19, v7
	v_cmp_ne_u64_e32 vcc, 0, v[4:5]
	s_and_saveexec_b64 s[2:3], vcc
	s_xor_b64 s[20:21], exec, s[2:3]
	s_cbranch_execz .LBB0_4
; %bb.3:                                ;   in Loop: Header=BB0_2 Depth=1
	v_cvt_f32_u32_e32 v1, s18
	v_cvt_f32_u32_e32 v5, s19
	s_sub_u32 s2, 0, s18
	s_subb_u32 s3, 0, s19
	v_fmac_f32_e32 v1, 0x4f800000, v5
	v_rcp_f32_e32 v1, v1
	s_nop 0
	v_mul_f32_e32 v1, 0x5f7ffffc, v1
	v_mul_f32_e32 v5, 0x2f800000, v1
	v_trunc_f32_e32 v5, v5
	v_fmac_f32_e32 v1, 0xcf800000, v5
	v_cvt_u32_f32_e32 v5, v5
	v_cvt_u32_f32_e32 v1, v1
	v_mul_lo_u32 v8, s2, v5
	v_mul_hi_u32 v10, s2, v1
	v_mul_lo_u32 v9, s3, v1
	v_add_u32_e32 v10, v10, v8
	v_mul_lo_u32 v12, s2, v1
	v_add_u32_e32 v13, v10, v9
	v_mul_hi_u32 v8, v1, v12
	v_mul_hi_u32 v11, v1, v13
	v_mul_lo_u32 v10, v1, v13
	v_mov_b32_e32 v9, v4
	v_lshl_add_u64 v[8:9], v[8:9], 0, v[10:11]
	v_mul_hi_u32 v11, v5, v12
	v_mul_lo_u32 v12, v5, v12
	v_add_co_u32_e32 v8, vcc, v8, v12
	v_mul_hi_u32 v10, v5, v13
	s_nop 0
	v_addc_co_u32_e32 v8, vcc, v9, v11, vcc
	v_mov_b32_e32 v9, v4
	s_nop 0
	v_addc_co_u32_e32 v11, vcc, 0, v10, vcc
	v_mul_lo_u32 v10, v5, v13
	v_lshl_add_u64 v[8:9], v[8:9], 0, v[10:11]
	v_add_co_u32_e32 v1, vcc, v1, v8
	v_mul_lo_u32 v10, s2, v1
	s_nop 0
	v_addc_co_u32_e32 v5, vcc, v5, v9, vcc
	v_mul_lo_u32 v8, s2, v5
	v_mul_hi_u32 v9, s2, v1
	v_add_u32_e32 v8, v9, v8
	v_mul_lo_u32 v9, s3, v1
	v_add_u32_e32 v12, v8, v9
	v_mul_hi_u32 v14, v5, v10
	v_mul_lo_u32 v15, v5, v10
	v_mul_hi_u32 v9, v1, v12
	v_mul_lo_u32 v8, v1, v12
	v_mul_hi_u32 v10, v1, v10
	v_mov_b32_e32 v11, v4
	v_lshl_add_u64 v[8:9], v[10:11], 0, v[8:9]
	v_add_co_u32_e32 v8, vcc, v8, v15
	v_mul_hi_u32 v13, v5, v12
	s_nop 0
	v_addc_co_u32_e32 v8, vcc, v9, v14, vcc
	v_mul_lo_u32 v10, v5, v12
	s_nop 0
	v_addc_co_u32_e32 v11, vcc, 0, v13, vcc
	v_mov_b32_e32 v9, v4
	v_lshl_add_u64 v[8:9], v[8:9], 0, v[10:11]
	v_add_co_u32_e32 v1, vcc, v1, v8
	v_mul_hi_u32 v10, v6, v1
	s_nop 0
	v_addc_co_u32_e32 v5, vcc, v5, v9, vcc
	v_mad_u64_u32 v[8:9], s[2:3], v6, v5, 0
	v_mov_b32_e32 v11, v4
	v_lshl_add_u64 v[8:9], v[10:11], 0, v[8:9]
	v_mad_u64_u32 v[12:13], s[2:3], v7, v1, 0
	v_add_co_u32_e32 v1, vcc, v8, v12
	v_mad_u64_u32 v[10:11], s[2:3], v7, v5, 0
	s_nop 0
	v_addc_co_u32_e32 v8, vcc, v9, v13, vcc
	v_mov_b32_e32 v9, v4
	s_nop 0
	v_addc_co_u32_e32 v11, vcc, 0, v11, vcc
	v_lshl_add_u64 v[8:9], v[8:9], 0, v[10:11]
	v_mul_lo_u32 v1, s19, v8
	v_mul_lo_u32 v5, s18, v9
	v_mad_u64_u32 v[10:11], s[2:3], s18, v8, 0
	v_add3_u32 v1, v11, v5, v1
	v_sub_u32_e32 v5, v7, v1
	v_mov_b32_e32 v11, s19
	v_sub_co_u32_e32 v14, vcc, v6, v10
	v_lshl_add_u64 v[12:13], v[8:9], 0, 1
	s_nop 0
	v_subb_co_u32_e64 v5, s[2:3], v5, v11, vcc
	v_subrev_co_u32_e64 v10, s[2:3], s18, v14
	v_subb_co_u32_e32 v1, vcc, v7, v1, vcc
	s_nop 0
	v_subbrev_co_u32_e64 v5, s[2:3], 0, v5, s[2:3]
	v_cmp_le_u32_e64 s[2:3], s19, v5
	v_cmp_le_u32_e32 vcc, s19, v1
	s_nop 0
	v_cndmask_b32_e64 v11, 0, -1, s[2:3]
	v_cmp_le_u32_e64 s[2:3], s18, v10
	s_nop 1
	v_cndmask_b32_e64 v10, 0, -1, s[2:3]
	v_cmp_eq_u32_e64 s[2:3], s19, v5
	s_nop 1
	v_cndmask_b32_e64 v5, v11, v10, s[2:3]
	v_lshl_add_u64 v[10:11], v[8:9], 0, 2
	v_cmp_ne_u32_e64 s[2:3], 0, v5
	s_nop 1
	v_cndmask_b32_e64 v5, v13, v11, s[2:3]
	v_cndmask_b32_e64 v11, 0, -1, vcc
	v_cmp_le_u32_e32 vcc, s18, v14
	s_nop 1
	v_cndmask_b32_e64 v13, 0, -1, vcc
	v_cmp_eq_u32_e32 vcc, s19, v1
	s_nop 1
	v_cndmask_b32_e32 v1, v11, v13, vcc
	v_cmp_ne_u32_e32 vcc, 0, v1
	v_cndmask_b32_e64 v1, v12, v10, s[2:3]
	s_nop 0
	v_cndmask_b32_e32 v9, v9, v5, vcc
	v_cndmask_b32_e32 v8, v8, v1, vcc
.LBB0_4:                                ;   in Loop: Header=BB0_2 Depth=1
	s_andn2_saveexec_b64 s[2:3], s[20:21]
	s_cbranch_execz .LBB0_6
; %bb.5:                                ;   in Loop: Header=BB0_2 Depth=1
	v_cvt_f32_u32_e32 v1, s18
	s_sub_i32 s20, 0, s18
	v_rcp_iflag_f32_e32 v1, v1
	s_nop 0
	v_mul_f32_e32 v1, 0x4f7ffffe, v1
	v_cvt_u32_f32_e32 v1, v1
	v_mul_lo_u32 v5, s20, v1
	v_mul_hi_u32 v5, v1, v5
	v_add_u32_e32 v1, v1, v5
	v_mul_hi_u32 v1, v6, v1
	v_mul_lo_u32 v5, v1, s18
	v_sub_u32_e32 v5, v6, v5
	v_add_u32_e32 v8, 1, v1
	v_subrev_u32_e32 v9, s18, v5
	v_cmp_le_u32_e32 vcc, s18, v5
	s_nop 1
	v_cndmask_b32_e32 v5, v5, v9, vcc
	v_cndmask_b32_e32 v1, v1, v8, vcc
	v_add_u32_e32 v8, 1, v1
	v_cmp_le_u32_e32 vcc, s18, v5
	v_mov_b32_e32 v9, v4
	s_nop 0
	v_cndmask_b32_e32 v8, v1, v8, vcc
.LBB0_6:                                ;   in Loop: Header=BB0_2 Depth=1
	s_or_b64 exec, exec, s[2:3]
	v_mad_u64_u32 v[10:11], s[2:3], v8, s18, 0
	s_load_dwordx2 s[2:3], s[12:13], 0x0
	v_mul_lo_u32 v1, v9, s18
	v_mul_lo_u32 v5, v8, s19
	v_add3_u32 v1, v11, v5, v1
	v_sub_co_u32_e32 v5, vcc, v6, v10
	s_add_u32 s14, s14, 1
	s_nop 0
	v_subb_co_u32_e32 v1, vcc, v7, v1, vcc
	s_addc_u32 s15, s15, 0
	s_waitcnt lgkmcnt(0)
	v_mul_lo_u32 v1, s2, v1
	v_mul_lo_u32 v6, s3, v5
	v_mad_u64_u32 v[2:3], s[2:3], s2, v5, v[2:3]
	s_add_u32 s12, s12, 8
	v_add3_u32 v3, v6, v3, v1
	s_addc_u32 s13, s13, 0
	v_mov_b64_e32 v[6:7], s[6:7]
	s_add_u32 s16, s16, 8
	v_cmp_ge_u64_e32 vcc, s[14:15], v[6:7]
	s_addc_u32 s17, s17, 0
	s_cbranch_vccnz .LBB0_9
; %bb.7:                                ;   in Loop: Header=BB0_2 Depth=1
	v_mov_b64_e32 v[6:7], v[8:9]
	s_branch .LBB0_2
.LBB0_8:
	v_mov_b64_e32 v[8:9], v[6:7]
.LBB0_9:
	s_lshl_b64 s[2:3], s[6:7], 3
	s_add_u32 s2, s10, s2
	s_addc_u32 s3, s11, s3
	s_load_dwordx2 s[6:7], s[2:3], 0x0
	s_load_dwordx2 s[10:11], s[0:1], 0x20
	s_mov_b32 s2, 0x253c826
	s_waitcnt lgkmcnt(0)
	v_mul_lo_u32 v1, s6, v9
	v_mul_lo_u32 v4, s7, v8
	v_mad_u64_u32 v[2:3], s[0:1], s6, v8, v[2:3]
	v_add3_u32 v3, v4, v3, v1
	v_mul_hi_u32 v1, v0, s2
	v_mul_u32_u24_e32 v1, 0x6e, v1
	v_cmp_gt_u64_e64 s[0:1], s[10:11], v[8:9]
	v_sub_u32_e32 v78, v0, v1
	v_lshl_add_u64 v[76:77], v[2:3], 4, s[8:9]
	s_and_saveexec_b64 s[2:3], s[0:1]
	s_cbranch_execz .LBB0_13
; %bb.10:
	v_mov_b32_e32 v79, 0
	v_lshl_add_u64 v[48:49], v[78:79], 4, v[76:77]
	v_add_co_u32_e32 v24, vcc, 0x1000, v48
	global_load_dwordx4 v[0:3], v[48:49], off
	global_load_dwordx4 v[4:7], v[48:49], off offset:1760
	v_addc_co_u32_e32 v25, vcc, 0, v49, vcc
	v_add_co_u32_e32 v40, vcc, 0x2000, v48
	global_load_dwordx4 v[8:11], v[48:49], off offset:3520
	global_load_dwordx4 v[12:15], v[24:25], off offset:1184
	v_addc_co_u32_e32 v41, vcc, 0, v49, vcc
	v_add_co_u32_e32 v42, vcc, 0x3000, v48
	global_load_dwordx4 v[16:19], v[24:25], off offset:2944
	;; [unrolled: 4-line block ×3, first 2 shown]
	global_load_dwordx4 v[28:31], v[42:43], off offset:32
	global_load_dwordx4 v[32:35], v[42:43], off offset:1792
	;; [unrolled: 1-line block ×3, first 2 shown]
	v_addc_co_u32_e32 v51, vcc, 0, v49, vcc
	v_add_co_u32_e32 v60, vcc, 0x5000, v48
	global_load_dwordx4 v[40:43], v[50:51], off offset:1216
	global_load_dwordx4 v[44:47], v[50:51], off offset:2976
	v_addc_co_u32_e32 v61, vcc, 0, v49, vcc
	v_add_co_u32_e32 v62, vcc, 0x6000, v48
	s_movk_i32 s6, 0x6d
	s_nop 0
	v_addc_co_u32_e32 v63, vcc, 0, v49, vcc
	global_load_dwordx4 v[48:51], v[60:61], off offset:640
	global_load_dwordx4 v[52:55], v[60:61], off offset:2400
	;; [unrolled: 1-line block ×3, first 2 shown]
	v_lshl_add_u32 v60, v78, 4, 0
	v_cmp_eq_u32_e32 vcc, s6, v78
	s_waitcnt vmcnt(14)
	ds_write_b128 v60, v[0:3]
	s_waitcnt vmcnt(13)
	ds_write_b128 v60, v[4:7] offset:1760
	s_waitcnt vmcnt(12)
	ds_write_b128 v60, v[8:11] offset:3520
	;; [unrolled: 2-line block ×14, first 2 shown]
	s_and_saveexec_b64 s[6:7], vcc
	s_cbranch_execz .LBB0_12
; %bb.11:
	v_add_co_u32_e32 v0, vcc, 0x6000, v76
	v_mov_b32_e32 v78, 0x6d
	s_nop 0
	v_addc_co_u32_e32 v1, vcc, 0, v77, vcc
	global_load_dwordx4 v[0:3], v[0:1], off offset:1824
	s_waitcnt vmcnt(0)
	ds_write_b128 v79, v[0:3] offset:26400
.LBB0_12:
	s_or_b64 exec, exec, s[6:7]
.LBB0_13:
	s_or_b64 exec, exec, s[2:3]
	v_lshlrev_b32_e32 v0, 4, v78
	v_add_u32_e32 v152, 0, v0
	s_waitcnt lgkmcnt(0)
	s_barrier
	v_sub_u32_e32 v14, 0, v0
	ds_read_b64 v[2:3], v152
	ds_read_b64 v[8:9], v14 offset:26400
	s_add_u32 s2, s4, 0x6670
	s_addc_u32 s3, s5, 0
	v_cmp_ne_u32_e32 vcc, 0, v78
                                        ; implicit-def: $vgpr0_vgpr1
	s_waitcnt lgkmcnt(0)
	v_add_f64 v[4:5], v[2:3], v[8:9]
	v_add_f64 v[6:7], v[2:3], -v[8:9]
	s_and_saveexec_b64 s[6:7], vcc
	s_xor_b64 s[6:7], exec, s[6:7]
	s_cbranch_execz .LBB0_15
; %bb.14:
	v_mov_b32_e32 v79, 0
	v_lshl_add_u64 v[0:1], v[78:79], 4, s[2:3]
	global_load_dwordx4 v[10:13], v[0:1], off
	ds_read_b64 v[0:1], v14 offset:26408
	ds_read_b64 v[4:5], v152 offset:8
	v_add_f64 v[16:17], v[2:3], v[8:9]
	v_add_f64 v[8:9], v[2:3], -v[8:9]
	s_waitcnt lgkmcnt(0)
	v_add_f64 v[18:19], v[0:1], v[4:5]
	v_add_f64 v[2:3], v[4:5], -v[0:1]
	s_waitcnt vmcnt(0)
	v_fma_f64 v[6:7], v[18:19], v[12:13], v[2:3]
	v_fma_f64 v[0:1], -v[8:9], v[12:13], v[16:17]
	v_fma_f64 v[2:3], v[18:19], v[12:13], -v[2:3]
	v_fma_f64 v[4:5], v[8:9], v[12:13], v[16:17]
	v_fmac_f64_e32 v[0:1], v[18:19], v[10:11]
	v_fmac_f64_e32 v[2:3], v[8:9], v[10:11]
	v_fma_f64 v[4:5], -v[18:19], v[10:11], v[4:5]
	v_fmac_f64_e32 v[6:7], v[8:9], v[10:11]
	ds_write_b128 v14, v[0:3] offset:26400
	v_mov_b64_e32 v[0:1], v[78:79]
.LBB0_15:
	s_andn2_saveexec_b64 s[6:7], s[6:7]
	s_cbranch_execz .LBB0_17
; %bb.16:
	v_mov_b32_e32 v8, 0
	ds_read_b128 v[0:3], v8 offset:13200
	s_waitcnt lgkmcnt(0)
	v_add_f64 v[0:1], v[0:1], v[0:1]
	v_mul_f64 v[2:3], v[2:3], -2.0
	ds_write_b128 v8, v[0:3] offset:13200
	v_mov_b64_e32 v[0:1], 0
.LBB0_17:
	s_or_b64 exec, exec, s[6:7]
	v_lshl_add_u64 v[12:13], v[0:1], 4, s[2:3]
	global_load_dwordx4 v[0:3], v[12:13], off offset:1760
	v_add_u32_e32 v80, 0xdc, v78
	v_mov_b32_e32 v81, 0
	v_lshl_add_u64 v[8:9], v[80:81], 4, s[2:3]
	global_load_dwordx4 v[8:11], v[8:9], off
	v_add_u32_e32 v82, 0x14a, v78
	v_mov_b32_e32 v83, v81
	v_lshl_add_u64 v[16:17], v[82:83], 4, s[2:3]
	global_load_dwordx4 v[16:19], v[16:17], off
	;; [unrolled: 4-line block ×3, first 2 shown]
	ds_write_b128 v152, v[4:7]
	v_add_u32_e32 v86, 0x226, v78
	v_mov_b32_e32 v87, v81
	ds_read_b128 v[4:7], v152 offset:1760
	ds_read_b128 v[24:27], v14 offset:24640
	v_lshl_add_u64 v[28:29], v[86:87], 4, s[2:3]
	global_load_dwordx4 v[28:31], v[28:29], off
	s_movk_i32 s6, 0x2000
	v_lshl_add_u32 v79, v80, 4, 0
	s_waitcnt lgkmcnt(0)
	v_add_f64 v[32:33], v[4:5], v[24:25]
	v_add_f64 v[34:35], v[26:27], v[6:7]
	v_add_f64 v[36:37], v[4:5], -v[24:25]
	v_add_f64 v[6:7], v[6:7], -v[26:27]
	v_lshl_add_u32 v83, v82, 4, 0
	v_lshl_add_u32 v81, v84, 4, 0
	;; [unrolled: 1-line block ×3, first 2 shown]
	s_waitcnt vmcnt(4)
	v_fma_f64 v[38:39], v[36:37], v[2:3], v[32:33]
	v_fma_f64 v[4:5], v[34:35], v[2:3], v[6:7]
	v_fma_f64 v[24:25], -v[36:37], v[2:3], v[32:33]
	v_fma_f64 v[26:27], v[34:35], v[2:3], -v[6:7]
	v_fma_f64 v[2:3], -v[34:35], v[0:1], v[38:39]
	v_fmac_f64_e32 v[4:5], v[36:37], v[0:1]
	v_fmac_f64_e32 v[24:25], v[34:35], v[0:1]
	v_fmac_f64_e32 v[26:27], v[36:37], v[0:1]
	ds_write_b128 v152, v[2:5] offset:1760
	ds_write_b128 v14, v[24:27] offset:24640
	v_add_co_u32_e32 v24, vcc, s6, v12
	ds_read_b128 v[0:3], v79
	ds_read_b128 v[4:7], v14 offset:22880
	v_addc_co_u32_e32 v25, vcc, 0, v13, vcc
	global_load_dwordx4 v[24:27], v[24:25], off offset:2368
	v_cmp_gt_u32_e32 vcc, 55, v78
	s_waitcnt lgkmcnt(0)
	v_add_f64 v[32:33], v[0:1], v[4:5]
	v_add_f64 v[34:35], v[6:7], v[2:3]
	v_add_f64 v[36:37], v[0:1], -v[4:5]
	v_add_f64 v[0:1], v[2:3], -v[6:7]
	s_waitcnt vmcnt(4)
	v_fma_f64 v[38:39], v[36:37], v[10:11], v[32:33]
	v_fma_f64 v[2:3], v[34:35], v[10:11], v[0:1]
	v_fma_f64 v[4:5], -v[36:37], v[10:11], v[32:33]
	v_fma_f64 v[6:7], v[34:35], v[10:11], -v[0:1]
	v_fma_f64 v[0:1], -v[34:35], v[8:9], v[38:39]
	v_fmac_f64_e32 v[2:3], v[36:37], v[8:9]
	v_fmac_f64_e32 v[4:5], v[34:35], v[8:9]
	v_fmac_f64_e32 v[6:7], v[36:37], v[8:9]
	ds_write_b128 v79, v[0:3]
	ds_write_b128 v14, v[4:7] offset:22880
	ds_read_b128 v[0:3], v83
	ds_read_b128 v[4:7], v14 offset:21120
	s_waitcnt lgkmcnt(0)
	v_add_f64 v[8:9], v[0:1], v[4:5]
	v_add_f64 v[10:11], v[6:7], v[2:3]
	v_add_f64 v[32:33], v[0:1], -v[4:5]
	v_add_f64 v[0:1], v[2:3], -v[6:7]
	s_waitcnt vmcnt(3)
	v_fma_f64 v[34:35], v[32:33], v[18:19], v[8:9]
	v_fma_f64 v[2:3], v[10:11], v[18:19], v[0:1]
	v_fma_f64 v[4:5], -v[32:33], v[18:19], v[8:9]
	v_fma_f64 v[6:7], v[10:11], v[18:19], -v[0:1]
	v_fma_f64 v[0:1], -v[10:11], v[16:17], v[34:35]
	v_fmac_f64_e32 v[2:3], v[32:33], v[16:17]
	v_fmac_f64_e32 v[4:5], v[10:11], v[16:17]
	v_fmac_f64_e32 v[6:7], v[32:33], v[16:17]
	ds_write_b128 v83, v[0:3]
	ds_write_b128 v14, v[4:7] offset:21120
	ds_read_b128 v[0:3], v81
	ds_read_b128 v[4:7], v14 offset:19360
	;; [unrolled: 18-line block ×3, first 2 shown]
	s_waitcnt lgkmcnt(0)
	v_add_f64 v[8:9], v[0:1], v[4:5]
	v_add_f64 v[10:11], v[6:7], v[2:3]
	v_add_f64 v[16:17], v[0:1], -v[4:5]
	v_add_f64 v[0:1], v[2:3], -v[6:7]
	s_waitcnt vmcnt(1)
	v_fma_f64 v[18:19], v[16:17], v[30:31], v[8:9]
	v_fma_f64 v[2:3], v[10:11], v[30:31], v[0:1]
	v_fma_f64 v[4:5], -v[16:17], v[30:31], v[8:9]
	v_fma_f64 v[6:7], v[10:11], v[30:31], -v[0:1]
	v_fma_f64 v[0:1], -v[10:11], v[28:29], v[18:19]
	v_fmac_f64_e32 v[2:3], v[16:17], v[28:29]
	v_fmac_f64_e32 v[4:5], v[10:11], v[28:29]
	;; [unrolled: 1-line block ×3, first 2 shown]
	ds_write_b128 v85, v[0:3]
	ds_write_b128 v14, v[4:7] offset:17600
	ds_read_b128 v[0:3], v152 offset:10560
	ds_read_b128 v[4:7], v14 offset:15840
	s_waitcnt lgkmcnt(0)
	v_add_f64 v[8:9], v[0:1], v[4:5]
	v_add_f64 v[10:11], v[6:7], v[2:3]
	v_add_f64 v[16:17], v[0:1], -v[4:5]
	v_add_f64 v[0:1], v[2:3], -v[6:7]
	s_waitcnt vmcnt(0)
	v_fma_f64 v[18:19], v[16:17], v[26:27], v[8:9]
	v_fma_f64 v[2:3], v[10:11], v[26:27], v[0:1]
	v_fma_f64 v[4:5], -v[16:17], v[26:27], v[8:9]
	v_fma_f64 v[6:7], v[10:11], v[26:27], -v[0:1]
	v_fma_f64 v[0:1], -v[10:11], v[24:25], v[18:19]
	v_fmac_f64_e32 v[2:3], v[16:17], v[24:25]
	v_fmac_f64_e32 v[4:5], v[10:11], v[24:25]
	;; [unrolled: 1-line block ×3, first 2 shown]
	ds_write_b128 v152, v[0:3] offset:10560
	ds_write_b128 v14, v[4:7] offset:15840
	s_and_saveexec_b64 s[6:7], vcc
	s_cbranch_execz .LBB0_19
; %bb.18:
	s_movk_i32 s2, 0x3000
	v_add_co_u32_e64 v0, s[2:3], s2, v12
	s_nop 1
	v_addc_co_u32_e64 v1, s[2:3], 0, v13, s[2:3]
	global_load_dwordx4 v[0:3], v[0:1], off offset:32
	ds_read_b128 v[4:7], v152 offset:12320
	ds_read_b128 v[8:11], v14 offset:14080
	s_waitcnt lgkmcnt(0)
	v_add_f64 v[12:13], v[4:5], v[8:9]
	v_add_f64 v[16:17], v[10:11], v[6:7]
	v_add_f64 v[18:19], v[4:5], -v[8:9]
	v_add_f64 v[8:9], v[6:7], -v[10:11]
	s_waitcnt vmcnt(0)
	v_fma_f64 v[10:11], v[18:19], v[2:3], v[12:13]
	v_fma_f64 v[4:5], v[16:17], v[2:3], v[8:9]
	v_fma_f64 v[6:7], -v[18:19], v[2:3], v[12:13]
	v_fma_f64 v[8:9], v[16:17], v[2:3], -v[8:9]
	v_fma_f64 v[2:3], -v[16:17], v[0:1], v[10:11]
	v_fmac_f64_e32 v[4:5], v[18:19], v[0:1]
	v_fmac_f64_e32 v[6:7], v[16:17], v[0:1]
	;; [unrolled: 1-line block ×3, first 2 shown]
	ds_write_b128 v152, v[2:5] offset:12320
	ds_write_b128 v14, v[6:9] offset:14080
.LBB0_19:
	s_or_b64 exec, exec, s[6:7]
	s_waitcnt lgkmcnt(0)
	s_barrier
	s_barrier
	ds_read_b128 v[48:51], v152
	ds_read_b128 v[0:3], v152 offset:1760
	ds_read_b128 v[88:91], v152 offset:2400
	;; [unrolled: 1-line block ×11, first 2 shown]
	s_waitcnt lgkmcnt(9)
	v_add_f64 v[24:25], v[48:49], v[88:89]
	v_add_f64 v[26:27], v[50:51], v[90:91]
	ds_read_b128 v[60:63], v152 offset:14400
	s_waitcnt lgkmcnt(8)
	v_add_f64 v[24:25], v[24:25], v[72:73]
	v_add_f64 v[26:27], v[26:27], v[74:75]
	s_waitcnt lgkmcnt(6)
	v_add_f64 v[24:25], v[24:25], v[64:65]
	v_add_f64 v[26:27], v[26:27], v[66:67]
	;; [unrolled: 3-line block ×4, first 2 shown]
	ds_read_b128 v[24:27], v152 offset:16160
	ds_read_b128 v[68:71], v152 offset:16800
	s_waitcnt lgkmcnt(2)
	v_add_f64 v[32:33], v[28:29], v[60:61]
	v_add_f64 v[34:35], v[30:31], v[62:63]
	ds_read_b128 v[28:31], v152 offset:18560
	ds_read_b128 v[108:111], v152 offset:19200
	s_mov_b32 s14, 0xf8bb580b
	s_waitcnt lgkmcnt(2)
	v_add_f64 v[36:37], v[32:33], v[68:69]
	v_add_f64 v[38:39], v[34:35], v[70:71]
	ds_read_b128 v[32:35], v152 offset:20960
	ds_read_b128 v[92:95], v152 offset:21600
	s_waitcnt lgkmcnt(2)
	v_add_f64 v[40:41], v[36:37], v[108:109]
	v_add_f64 v[42:43], v[38:39], v[110:111]
	ds_read_b128 v[112:115], v152 offset:24000
	ds_read_b128 v[36:39], v152 offset:23360
	s_mov_b32 s18, 0x8eee2c13
	s_mov_b32 s20, 0x43842ef
	;; [unrolled: 1-line block ×4, first 2 shown]
	s_waitcnt lgkmcnt(1)
	v_add_f64 v[106:107], v[90:91], -v[114:115]
	s_mov_b32 s15, 0xbfe14ced
	s_mov_b32 s6, 0x8764f0ba
	;; [unrolled: 1-line block ×10, first 2 shown]
	v_add_f64 v[44:45], v[40:41], v[92:93]
	v_add_f64 v[46:47], v[42:43], v[94:95]
	;; [unrolled: 1-line block ×4, first 2 shown]
	v_add_f64 v[98:99], v[88:89], -v[112:113]
	v_add_f64 v[88:89], v[72:73], v[92:93]
	v_add_f64 v[90:91], v[74:75], v[94:95]
	v_add_f64 v[72:73], v[72:73], -v[92:93]
	v_add_f64 v[74:75], v[74:75], -v[94:95]
	v_add_f64 v[92:93], v[64:65], v[108:109]
	v_add_f64 v[94:95], v[66:67], v[110:111]
	v_add_f64 v[64:65], v[64:65], -v[108:109]
	v_add_f64 v[66:67], v[66:67], -v[110:111]
	v_add_f64 v[96:97], v[56:57], v[68:69]
	v_add_f64 v[68:69], v[56:57], -v[68:69]
	v_add_f64 v[110:111], v[52:53], v[60:61]
	v_add_f64 v[108:109], v[52:53], -v[60:61]
	s_mov_b32 s7, 0x3feaeb8c
	v_mul_f64 v[52:53], v[106:107], s[14:15]
	s_mov_b32 s9, 0x3fda9628
	v_mul_f64 v[56:57], v[106:107], s[18:19]
	;; [unrolled: 2-line block ×4, first 2 shown]
	v_mul_f64 v[106:107], v[106:107], s[24:25]
	s_mov_b32 s17, 0xbfeeb42a
	v_add_f64 v[44:45], v[44:45], v[112:113]
	v_add_f64 v[46:47], v[46:47], v[114:115]
	;; [unrolled: 1-line block ×3, first 2 shown]
	v_add_f64 v[70:71], v[58:59], -v[70:71]
	v_add_f64 v[112:113], v[54:55], v[62:63]
	v_add_f64 v[114:115], v[54:55], -v[62:63]
	v_fma_f64 v[54:55], s[6:7], v[104:105], v[52:53]
	v_fma_f64 v[52:53], v[104:105], s[6:7], -v[52:53]
	v_fma_f64 v[58:59], s[8:9], v[104:105], v[56:57]
	v_fma_f64 v[56:57], v[104:105], s[8:9], -v[56:57]
	;; [unrolled: 2-line block ×5, first 2 shown]
	s_mov_b32 s27, 0x3fe14ced
	s_mov_b32 s26, s14
	v_mul_f64 v[106:107], v[100:101], s[6:7]
	v_fma_f64 v[122:123], s[26:27], v[98:99], v[106:107]
	s_mov_b32 s35, 0x3fed1bb4
	s_mov_b32 s34, s18
	v_mul_f64 v[124:125], v[100:101], s[8:9]
	s_mov_b32 s29, 0x3fefac9e
	s_mov_b32 s28, s20
	v_mul_f64 v[128:129], v[100:101], s[10:11]
	;; [unrolled: 3-line block ×3, first 2 shown]
	v_mul_f64 v[100:101], v[100:101], s[16:17]
	s_mov_b32 s31, 0x3fd207e7
	s_mov_b32 s30, s24
	v_fmac_f64_e32 v[106:107], s[14:15], v[98:99]
	v_fma_f64 v[126:127], s[34:35], v[98:99], v[124:125]
	v_fmac_f64_e32 v[124:125], s[18:19], v[98:99]
	v_fma_f64 v[130:131], s[28:29], v[98:99], v[128:129]
	;; [unrolled: 2-line block ×4, first 2 shown]
	v_fmac_f64_e32 v[100:101], s[24:25], v[98:99]
	v_add_f64 v[54:55], v[48:49], v[54:55]
	v_add_f64 v[98:99], v[50:51], v[122:123]
	;; [unrolled: 1-line block ×11, first 2 shown]
	v_mul_f64 v[48:49], v[74:75], s[18:19]
	v_mul_f64 v[60:61], v[90:91], s[8:9]
	v_add_f64 v[106:107], v[50:51], v[106:107]
	v_add_f64 v[126:127], v[50:51], v[126:127]
	;; [unrolled: 1-line block ×9, first 2 shown]
	v_fma_f64 v[50:51], s[8:9], v[88:89], v[48:49]
	v_fma_f64 v[52:53], s[34:35], v[72:73], v[60:61]
	v_mul_f64 v[62:63], v[66:67], s[20:21]
	v_add_f64 v[50:51], v[50:51], v[54:55]
	v_add_f64 v[52:53], v[52:53], v[98:99]
	v_fma_f64 v[54:55], s[10:11], v[92:93], v[62:63]
	v_mul_f64 v[98:99], v[94:95], s[10:11]
	v_add_f64 v[50:51], v[54:55], v[50:51]
	v_fma_f64 v[54:55], s[28:29], v[64:65], v[98:99]
	v_mul_f64 v[100:101], v[70:71], s[22:23]
	;; [unrolled: 3-line block ×4, first 2 shown]
	v_fmac_f64_e32 v[60:61], s[18:19], v[72:73]
	v_add_f64 v[54:55], v[54:55], v[52:53]
	v_fma_f64 v[52:53], s[16:17], v[110:111], v[116:117]
	v_fma_f64 v[48:49], v[88:89], s[8:9], -v[48:49]
	v_add_f64 v[60:61], v[60:61], v[106:107]
	v_fmac_f64_e32 v[98:99], s[20:21], v[64:65]
	v_add_f64 v[52:53], v[52:53], v[50:51]
	v_mul_f64 v[50:51], v[112:113], s[16:17]
	v_add_f64 v[48:49], v[48:49], v[122:123]
	v_fma_f64 v[62:63], v[92:93], s[10:11], -v[62:63]
	v_add_f64 v[60:61], v[98:99], v[60:61]
	v_fmac_f64_e32 v[104:105], s[22:23], v[68:69]
	v_fma_f64 v[120:121], s[30:31], v[108:109], v[50:51]
	v_add_f64 v[48:49], v[62:63], v[48:49]
	v_fma_f64 v[62:63], v[96:97], s[12:13], -v[100:101]
	v_add_f64 v[60:61], v[104:105], v[60:61]
	v_fmac_f64_e32 v[50:51], s[24:25], v[108:109]
	v_mul_f64 v[98:99], v[74:75], s[22:23]
	v_add_f64 v[48:49], v[62:63], v[48:49]
	v_fma_f64 v[62:63], v[110:111], s[16:17], -v[116:117]
	v_add_f64 v[50:51], v[50:51], v[60:61]
	v_fma_f64 v[60:61], s[12:13], v[88:89], v[98:99]
	v_mul_f64 v[100:101], v[90:91], s[12:13]
	v_mul_f64 v[104:105], v[66:67], s[30:31]
	v_add_f64 v[48:49], v[62:63], v[48:49]
	v_add_f64 v[58:59], v[60:61], v[58:59]
	v_fma_f64 v[60:61], s[2:3], v[72:73], v[100:101]
	v_fma_f64 v[62:63], s[16:17], v[92:93], v[104:105]
	v_mul_f64 v[106:107], v[94:95], s[16:17]
	v_add_f64 v[60:61], v[60:61], v[126:127]
	v_add_f64 v[58:59], v[62:63], v[58:59]
	v_fma_f64 v[62:63], s[24:25], v[64:65], v[106:107]
	v_mul_f64 v[116:117], v[70:71], s[28:29]
	v_add_f64 v[54:55], v[120:121], v[54:55]
	v_add_f64 v[60:61], v[62:63], v[60:61]
	v_fma_f64 v[62:63], s[10:11], v[96:97], v[116:117]
	v_mul_f64 v[120:121], v[102:103], s[10:11]
	v_add_f64 v[58:59], v[62:63], v[58:59]
	v_fma_f64 v[62:63], s[20:21], v[68:69], v[120:121]
	v_mul_f64 v[122:123], v[114:115], s[26:27]
	v_fma_f64 v[98:99], v[88:89], s[12:13], -v[98:99]
	v_fmac_f64_e32 v[100:101], s[22:23], v[72:73]
	v_add_f64 v[62:63], v[62:63], v[60:61]
	v_fma_f64 v[60:61], s[6:7], v[110:111], v[122:123]
	v_add_f64 v[56:57], v[98:99], v[56:57]
	v_add_f64 v[98:99], v[100:101], v[124:125]
	v_fmac_f64_e32 v[106:107], s[30:31], v[64:65]
	v_add_f64 v[60:61], v[60:61], v[58:59]
	v_mul_f64 v[58:59], v[112:113], s[6:7]
	v_add_f64 v[98:99], v[106:107], v[98:99]
	v_fmac_f64_e32 v[120:121], s[28:29], v[68:69]
	v_fma_f64 v[126:127], s[14:15], v[108:109], v[58:59]
	v_fma_f64 v[100:101], v[92:93], s[16:17], -v[104:105]
	v_add_f64 v[98:99], v[120:121], v[98:99]
	v_fmac_f64_e32 v[58:59], s[26:27], v[108:109]
	v_mul_f64 v[104:105], v[74:75], s[30:31]
	v_add_f64 v[56:57], v[100:101], v[56:57]
	v_fma_f64 v[100:101], v[96:97], s[10:11], -v[116:117]
	v_add_f64 v[58:59], v[58:59], v[98:99]
	v_fma_f64 v[98:99], s[16:17], v[88:89], v[104:105]
	v_mul_f64 v[116:117], v[66:67], s[34:35]
	v_add_f64 v[56:57], v[100:101], v[56:57]
	v_fma_f64 v[100:101], v[110:111], s[6:7], -v[122:123]
	v_add_f64 v[98:99], v[98:99], v[138:139]
	v_mul_f64 v[106:107], v[90:91], s[16:17]
	v_fma_f64 v[120:121], s[8:9], v[92:93], v[116:117]
	v_add_f64 v[56:57], v[100:101], v[56:57]
	v_fma_f64 v[100:101], s[24:25], v[72:73], v[106:107]
	v_add_f64 v[98:99], v[120:121], v[98:99]
	v_mul_f64 v[120:121], v[94:95], s[8:9]
	v_add_f64 v[100:101], v[100:101], v[130:131]
	v_fma_f64 v[122:123], s[18:19], v[64:65], v[120:121]
	v_add_f64 v[100:101], v[122:123], v[100:101]
	v_mul_f64 v[122:123], v[70:71], s[14:15]
	v_fma_f64 v[124:125], s[6:7], v[96:97], v[122:123]
	v_add_f64 v[98:99], v[124:125], v[98:99]
	v_mul_f64 v[124:125], v[102:103], s[6:7]
	v_fma_f64 v[104:105], v[88:89], s[16:17], -v[104:105]
	v_add_f64 v[62:63], v[126:127], v[62:63]
	v_fma_f64 v[126:127], s[26:27], v[68:69], v[124:125]
	v_add_f64 v[104:105], v[104:105], v[140:141]
	v_fmac_f64_e32 v[106:107], s[30:31], v[72:73]
	v_fma_f64 v[116:117], v[92:93], s[8:9], -v[116:117]
	v_add_f64 v[100:101], v[126:127], v[100:101]
	v_mul_f64 v[126:127], v[114:115], s[22:23]
	v_add_f64 v[106:107], v[106:107], v[128:129]
	v_add_f64 v[104:105], v[116:117], v[104:105]
	v_fmac_f64_e32 v[120:121], s[34:35], v[64:65]
	v_fma_f64 v[116:117], v[96:97], s[6:7], -v[122:123]
	v_add_f64 v[106:107], v[120:121], v[106:107]
	v_add_f64 v[104:105], v[116:117], v[104:105]
	v_fmac_f64_e32 v[124:125], s[14:15], v[68:69]
	v_fma_f64 v[116:117], v[110:111], s[12:13], -v[126:127]
	v_mul_f64 v[120:121], v[74:75], s[28:29]
	v_add_f64 v[106:107], v[124:125], v[106:107]
	v_add_f64 v[104:105], v[116:117], v[104:105]
	v_fma_f64 v[116:117], s[10:11], v[88:89], v[120:121]
	v_mul_f64 v[124:125], v[66:67], s[14:15]
	v_fma_f64 v[130:131], s[12:13], v[110:111], v[126:127]
	v_add_f64 v[116:117], v[116:117], v[118:119]
	v_mul_f64 v[122:123], v[90:91], s[10:11]
	v_fma_f64 v[126:127], s[6:7], v[92:93], v[124:125]
	v_fma_f64 v[118:119], s[20:21], v[72:73], v[122:123]
	v_add_f64 v[116:117], v[126:127], v[116:117]
	v_mul_f64 v[126:127], v[94:95], s[6:7]
	v_add_f64 v[98:99], v[130:131], v[98:99]
	v_mul_f64 v[130:131], v[112:113], s[12:13]
	v_add_f64 v[118:119], v[118:119], v[134:135]
	v_fma_f64 v[128:129], s[26:27], v[64:65], v[126:127]
	v_fma_f64 v[138:139], s[2:3], v[108:109], v[130:131]
	v_fmac_f64_e32 v[130:131], s[22:23], v[108:109]
	v_add_f64 v[118:119], v[128:129], v[118:119]
	v_mul_f64 v[128:129], v[70:71], s[24:25]
	v_add_f64 v[106:107], v[130:131], v[106:107]
	v_fma_f64 v[130:131], s[16:17], v[96:97], v[128:129]
	v_add_f64 v[116:117], v[130:131], v[116:117]
	v_mul_f64 v[130:131], v[102:103], s[16:17]
	v_fma_f64 v[120:121], v[88:89], s[10:11], -v[120:121]
	v_fma_f64 v[134:135], s[30:31], v[68:69], v[130:131]
	v_add_f64 v[120:121], v[120:121], v[142:143]
	v_fma_f64 v[124:125], v[92:93], s[6:7], -v[124:125]
	v_add_f64 v[118:119], v[134:135], v[118:119]
	v_mul_f64 v[134:135], v[114:115], s[34:35]
	v_add_f64 v[120:121], v[124:125], v[120:121]
	v_fma_f64 v[124:125], v[96:97], s[16:17], -v[128:129]
	v_fmac_f64_e32 v[122:123], s[28:29], v[72:73]
	v_add_f64 v[120:121], v[124:125], v[120:121]
	v_fma_f64 v[124:125], v[110:111], s[8:9], -v[134:135]
	v_mul_f64 v[74:75], v[74:75], s[26:27]
	v_add_f64 v[122:123], v[122:123], v[132:133]
	v_fmac_f64_e32 v[126:127], s[14:15], v[64:65]
	v_add_f64 v[120:121], v[124:125], v[120:121]
	v_fma_f64 v[124:125], s[6:7], v[88:89], v[74:75]
	v_mul_f64 v[90:91], v[90:91], s[6:7]
	v_mul_f64 v[66:67], v[66:67], s[22:23]
	v_add_f64 v[122:123], v[126:127], v[122:123]
	v_add_f64 v[124:125], v[124:125], v[144:145]
	v_fma_f64 v[126:127], s[14:15], v[72:73], v[90:91]
	v_fma_f64 v[128:129], s[12:13], v[92:93], v[66:67]
	v_mul_f64 v[94:95], v[94:95], s[12:13]
	v_add_f64 v[126:127], v[126:127], v[136:137]
	v_add_f64 v[124:125], v[128:129], v[124:125]
	v_fma_f64 v[128:129], s[2:3], v[64:65], v[94:95]
	v_mul_f64 v[70:71], v[70:71], s[34:35]
	ds_read_b128 v[40:43], v152 offset:25760
	v_add_f64 v[126:127], v[128:129], v[126:127]
	v_fma_f64 v[128:129], s[8:9], v[96:97], v[70:71]
	v_mul_f64 v[102:103], v[102:103], s[8:9]
	v_fma_f64 v[74:75], v[88:89], s[6:7], -v[74:75]
	v_fmac_f64_e32 v[90:91], s[26:27], v[72:73]
	v_add_f64 v[100:101], v[138:139], v[100:101]
	v_fma_f64 v[138:139], s[8:9], v[110:111], v[134:135]
	v_add_f64 v[124:125], v[128:129], v[124:125]
	v_fma_f64 v[128:129], s[18:19], v[68:69], v[102:103]
	v_mul_f64 v[114:115], v[114:115], s[20:21]
	v_add_f64 v[74:75], v[74:75], v[146:147]
	v_add_f64 v[72:73], v[90:91], v[148:149]
	v_fma_f64 v[66:67], v[92:93], s[12:13], -v[66:67]
	v_fmac_f64_e32 v[94:95], s[22:23], v[64:65]
	v_add_f64 v[116:117], v[138:139], v[116:117]
	v_mul_f64 v[138:139], v[112:113], s[8:9]
	v_add_f64 v[126:127], v[128:129], v[126:127]
	v_fma_f64 v[128:129], s[10:11], v[110:111], v[114:115]
	v_mul_f64 v[112:113], v[112:113], s[10:11]
	v_add_f64 v[66:67], v[66:67], v[74:75]
	v_add_f64 v[64:65], v[94:95], v[72:73]
	v_fma_f64 v[70:71], v[96:97], s[8:9], -v[70:71]
	v_fmac_f64_e32 v[102:103], s[34:35], v[68:69]
	v_fmac_f64_e32 v[130:131], s[24:25], v[68:69]
	v_add_f64 v[124:125], v[128:129], v[124:125]
	v_fma_f64 v[128:129], s[28:29], v[108:109], v[112:113]
	v_add_f64 v[66:67], v[70:71], v[66:67]
	v_add_f64 v[68:69], v[102:103], v[64:65]
	v_fma_f64 v[64:65], v[110:111], s[10:11], -v[114:115]
	v_fmac_f64_e32 v[112:113], s[20:21], v[108:109]
	s_movk_i32 s2, 0xb0
	v_fma_f64 v[140:141], s[18:19], v[108:109], v[138:139]
	v_add_f64 v[122:123], v[130:131], v[122:123]
	v_fmac_f64_e32 v[138:139], s[34:35], v[108:109]
	v_add_f64 v[64:65], v[64:65], v[66:67]
	v_add_f64 v[66:67], v[112:113], v[68:69]
	v_mad_u32_u24 v68, v78, s2, 0
	v_add_f64 v[118:119], v[140:141], v[118:119]
	v_add_f64 v[122:123], v[138:139], v[122:123]
	v_add_f64 v[126:127], v[128:129], v[126:127]
	s_waitcnt lgkmcnt(0)
	s_barrier
	ds_write_b128 v68, v[44:47]
	ds_write_b128 v68, v[52:55] offset:16
	ds_write_b128 v68, v[60:63] offset:32
	ds_write_b128 v68, v[98:101] offset:48
	ds_write_b128 v68, v[116:119] offset:64
	ds_write_b128 v68, v[124:127] offset:80
	ds_write_b128 v68, v[64:67] offset:96
	ds_write_b128 v68, v[120:123] offset:112
	ds_write_b128 v68, v[104:107] offset:128
	v_add_f64 v[64:65], v[6:7], -v[42:43]
	v_add_f64 v[60:61], v[4:5], v[40:41]
	v_mul_f64 v[112:113], v[64:65], s[20:21]
	v_add_f64 v[74:75], v[10:11], -v[38:39]
	v_fma_f64 v[44:45], s[10:11], v[60:61], v[112:113]
	v_add_f64 v[62:63], v[8:9], v[36:37]
	v_mul_f64 v[114:115], v[74:75], s[30:31]
	v_add_f64 v[96:97], v[4:5], -v[40:41]
	ds_write_b128 v68, v[56:59] offset:144
	v_add_f64 v[44:45], v[0:1], v[44:45]
	ds_write_b128 v68, v[48:51] offset:160
	v_fma_f64 v[46:47], s[16:17], v[62:63], v[114:115]
	v_add_f64 v[68:69], v[6:7], v[42:43]
	v_mul_f64 v[116:117], v[96:97], s[20:21]
	v_add_f64 v[98:99], v[8:9], -v[36:37]
	v_add_f64 v[44:45], v[46:47], v[44:45]
	v_fma_f64 v[46:47], v[68:69], s[10:11], -v[116:117]
	v_add_f64 v[70:71], v[10:11], v[38:39]
	v_mul_f64 v[120:121], v[98:99], s[30:31]
	v_add_f64 v[92:93], v[14:15], -v[34:35]
	v_add_f64 v[46:47], v[2:3], v[46:47]
	v_fma_f64 v[48:49], v[70:71], s[16:17], -v[120:121]
	v_add_f64 v[66:67], v[12:13], v[32:33]
	v_mul_f64 v[118:119], v[92:93], s[34:35]
	v_add_f64 v[104:105], v[12:13], -v[32:33]
	v_add_f64 v[46:47], v[48:49], v[46:47]
	v_fma_f64 v[48:49], s[8:9], v[66:67], v[118:119]
	v_add_f64 v[88:89], v[14:15], v[34:35]
	v_mul_f64 v[124:125], v[104:105], s[34:35]
	v_add_f64 v[102:103], v[18:19], -v[30:31]
	v_add_f64 v[44:45], v[48:49], v[44:45]
	v_fma_f64 v[48:49], v[88:89], s[8:9], -v[124:125]
	v_add_f64 v[72:73], v[16:17], v[28:29]
	v_mul_f64 v[122:123], v[102:103], s[14:15]
	v_add_f64 v[108:109], v[16:17], -v[28:29]
	v_add_f64 v[46:47], v[48:49], v[46:47]
	v_fma_f64 v[48:49], s[6:7], v[72:73], v[122:123]
	;; [unrolled: 10-line block ×3, first 2 shown]
	v_add_f64 v[100:101], v[22:23], v[26:27]
	v_mul_f64 v[130:131], v[110:111], s[22:23]
	v_add_f64 v[44:45], v[48:49], v[44:45]
	v_fma_f64 v[48:49], v[100:101], s[12:13], -v[130:131]
	v_mul_f64 v[132:133], v[64:65], s[22:23]
	v_add_f64 v[46:47], v[48:49], v[46:47]
	v_fma_f64 v[48:49], s[12:13], v[60:61], v[132:133]
	v_mul_f64 v[134:135], v[74:75], s[28:29]
	v_add_f64 v[48:49], v[0:1], v[48:49]
	v_fma_f64 v[50:51], s[10:11], v[62:63], v[134:135]
	v_mul_f64 v[140:141], v[96:97], s[22:23]
	v_add_f64 v[48:49], v[50:51], v[48:49]
	v_fma_f64 v[50:51], v[68:69], s[12:13], -v[140:141]
	v_mul_f64 v[144:145], v[98:99], s[28:29]
	v_add_f64 v[50:51], v[2:3], v[50:51]
	v_fma_f64 v[52:53], v[70:71], s[10:11], -v[144:145]
	v_mul_f64 v[136:137], v[92:93], s[14:15]
	v_add_f64 v[50:51], v[52:53], v[50:51]
	v_fma_f64 v[52:53], s[6:7], v[66:67], v[136:137]
	v_mul_f64 v[146:147], v[104:105], s[14:15]
	v_add_f64 v[48:49], v[52:53], v[48:49]
	v_fma_f64 v[52:53], v[88:89], s[6:7], -v[146:147]
	v_mul_f64 v[138:139], v[102:103], s[24:25]
	v_add_f64 v[50:51], v[52:53], v[50:51]
	v_fma_f64 v[52:53], s[16:17], v[72:73], v[138:139]
	v_mul_f64 v[148:149], v[108:109], s[24:25]
	v_add_f64 v[48:49], v[52:53], v[48:49]
	v_fma_f64 v[52:53], v[94:95], s[16:17], -v[148:149]
	v_mul_f64 v[142:143], v[106:107], s[34:35]
	v_add_f64 v[50:51], v[52:53], v[50:51]
	v_fma_f64 v[52:53], s[8:9], v[90:91], v[142:143]
	v_mul_f64 v[150:151], v[110:111], s[34:35]
	v_add_f64 v[48:49], v[52:53], v[48:49]
	v_fma_f64 v[52:53], v[100:101], s[8:9], -v[150:151]
	v_add_f64 v[50:51], v[52:53], v[50:51]
	v_cmp_gt_u32_e64 s[2:3], 40, v78
	s_and_saveexec_b64 s[36:37], s[2:3]
	s_cbranch_execz .LBB0_21
; %bb.20:
	v_mul_f64 v[158:159], v[96:97], s[24:25]
	v_mul_f64 v[154:155], v[98:99], s[26:27]
	v_fma_f64 v[160:161], s[16:17], v[68:69], v[158:159]
	v_mul_f64 v[58:59], v[104:105], s[22:23]
	v_fma_f64 v[156:157], s[6:7], v[70:71], v[154:155]
	v_add_f64 v[160:161], v[2:3], v[160:161]
	v_mul_f64 v[56:57], v[108:109], s[34:35]
	v_fma_f64 v[54:55], s[12:13], v[88:89], v[58:59]
	v_add_f64 v[156:157], v[156:157], v[160:161]
	;; [unrolled: 3-line block ×3, first 2 shown]
	v_mul_f64 v[162:163], v[74:75], s[26:27]
	v_fma_f64 v[166:167], v[60:61], s[16:17], -v[164:165]
	v_add_f64 v[52:53], v[52:53], v[54:55]
	v_mul_f64 v[160:161], v[92:93], s[22:23]
	v_fma_f64 v[54:55], v[62:63], s[6:7], -v[162:163]
	v_add_f64 v[166:167], v[0:1], v[166:167]
	v_mul_f64 v[156:157], v[102:103], s[34:35]
	v_add_f64 v[54:55], v[54:55], v[166:167]
	v_fma_f64 v[166:167], v[66:67], s[12:13], -v[160:161]
	v_fma_f64 v[158:159], v[68:69], s[16:17], -v[158:159]
	v_add_f64 v[54:55], v[166:167], v[54:55]
	v_fma_f64 v[166:167], v[72:73], s[8:9], -v[156:157]
	v_mul_f64 v[168:169], v[110:111], s[20:21]
	v_fma_f64 v[154:155], v[70:71], s[6:7], -v[154:155]
	v_add_f64 v[158:159], v[2:3], v[158:159]
	v_add_f64 v[166:167], v[166:167], v[54:55]
	v_fma_f64 v[54:55], s[10:11], v[100:101], v[168:169]
	v_mul_f64 v[170:171], v[106:107], s[20:21]
	v_add_f64 v[154:155], v[154:155], v[158:159]
	v_fma_f64 v[58:59], v[88:89], s[12:13], -v[58:59]
	v_add_f64 v[54:55], v[54:55], v[52:53]
	v_fma_f64 v[52:53], v[90:91], s[10:11], -v[170:171]
	;; [unrolled: 2-line block ×3, first 2 shown]
	v_fmac_f64_e32 v[164:165], s[16:17], v[60:61]
	v_add_f64 v[52:53], v[52:53], v[166:167]
	v_add_f64 v[56:57], v[56:57], v[58:59]
	v_fmac_f64_e32 v[162:163], s[6:7], v[62:63]
	v_add_f64 v[58:59], v[0:1], v[164:165]
	v_mul_f64 v[166:167], v[100:101], s[8:9]
	v_add_f64 v[58:59], v[162:163], v[58:59]
	v_fmac_f64_e32 v[160:161], s[12:13], v[66:67]
	v_add_f64 v[150:151], v[150:151], v[166:167]
	v_mul_f64 v[166:167], v[94:95], s[16:17]
	v_add_f64 v[58:59], v[160:161], v[58:59]
	v_mul_f64 v[160:161], v[68:69], s[12:13]
	;; [unrolled: 2-line block ×4, first 2 shown]
	v_add_f64 v[140:141], v[140:141], v[160:161]
	v_fmac_f64_e32 v[156:157], s[8:9], v[72:73]
	v_add_f64 v[144:145], v[144:145], v[166:167]
	v_add_f64 v[140:141], v[2:3], v[140:141]
	v_mul_f64 v[158:159], v[68:69], s[10:11]
	v_mul_f64 v[162:163], v[60:61], s[12:13]
	v_add_f64 v[156:157], v[156:157], v[58:59]
	v_fma_f64 v[58:59], v[100:101], s[10:11], -v[168:169]
	v_fmac_f64_e32 v[170:171], s[10:11], v[90:91]
	v_add_f64 v[140:141], v[144:145], v[140:141]
	v_add_f64 v[58:59], v[58:59], v[56:57]
	;; [unrolled: 1-line block ×3, first 2 shown]
	v_mul_f64 v[156:157], v[70:71], s[16:17]
	v_mul_f64 v[166:167], v[62:63], s[10:11]
	v_add_f64 v[140:141], v[146:147], v[140:141]
	v_add_f64 v[132:133], v[162:163], -v[132:133]
	v_add_f64 v[116:117], v[116:117], v[158:159]
	v_mul_f64 v[154:155], v[60:61], s[10:11]
	v_mul_f64 v[144:145], v[88:89], s[8:9]
	;; [unrolled: 1-line block ×3, first 2 shown]
	v_add_f64 v[140:141], v[148:149], v[140:141]
	v_mul_f64 v[148:149], v[90:91], s[8:9]
	v_add_f64 v[166:167], v[166:167], -v[134:135]
	v_add_f64 v[132:133], v[0:1], v[132:133]
	v_add_f64 v[120:121], v[120:121], v[156:157]
	;; [unrolled: 1-line block ×3, first 2 shown]
	v_mul_f64 v[164:165], v[62:63], s[16:17]
	v_add_f64 v[142:143], v[148:149], -v[142:143]
	v_mul_f64 v[148:149], v[72:73], s[16:17]
	v_add_f64 v[136:137], v[146:147], -v[136:137]
	v_mul_f64 v[146:147], v[94:95], s[6:7]
	v_add_f64 v[132:133], v[166:167], v[132:133]
	v_add_f64 v[124:125], v[124:125], v[144:145]
	;; [unrolled: 1-line block ×3, first 2 shown]
	v_add_f64 v[112:113], v[154:155], -v[112:113]
	v_mul_f64 v[160:161], v[66:67], s[8:9]
	v_add_f64 v[138:139], v[148:149], -v[138:139]
	v_mul_f64 v[148:149], v[72:73], s[6:7]
	v_mul_f64 v[162:163], v[100:101], s[12:13]
	v_add_f64 v[132:133], v[136:137], v[132:133]
	v_add_f64 v[128:129], v[128:129], v[146:147]
	;; [unrolled: 1-line block ×3, first 2 shown]
	v_add_f64 v[114:115], v[164:165], -v[114:115]
	v_add_f64 v[112:113], v[0:1], v[112:113]
	v_mul_f64 v[136:137], v[96:97], s[18:19]
	v_add_f64 v[132:133], v[138:139], v[132:133]
	v_add_f64 v[130:131], v[130:131], v[162:163]
	;; [unrolled: 1-line block ×3, first 2 shown]
	v_add_f64 v[122:123], v[148:149], -v[122:123]
	v_add_f64 v[118:119], v[160:161], -v[118:119]
	v_add_f64 v[112:113], v[114:115], v[112:113]
	v_mul_f64 v[128:129], v[98:99], s[22:23]
	v_fma_f64 v[138:139], s[8:9], v[68:69], v[136:137]
	v_mul_f64 v[148:149], v[64:65], s[18:19]
	v_mul_f64 v[168:169], v[90:91], s[12:13]
	v_add_f64 v[134:135], v[150:151], v[140:141]
	v_add_f64 v[116:117], v[130:131], v[116:117]
	;; [unrolled: 1-line block ×3, first 2 shown]
	v_mul_f64 v[124:125], v[104:105], s[30:31]
	v_fma_f64 v[130:131], s[12:13], v[70:71], v[128:129]
	v_add_f64 v[138:139], v[2:3], v[138:139]
	v_mul_f64 v[144:145], v[74:75], s[22:23]
	v_fma_f64 v[150:151], v[60:61], s[8:9], -v[148:149]
	v_add_f64 v[120:121], v[168:169], -v[126:127]
	v_add_f64 v[112:113], v[122:123], v[112:113]
	v_mul_f64 v[122:123], v[108:109], s[28:29]
	v_fma_f64 v[126:127], s[16:17], v[88:89], v[124:125]
	v_add_f64 v[130:131], v[130:131], v[138:139]
	v_mul_f64 v[140:141], v[92:93], s[30:31]
	v_fma_f64 v[146:147], v[62:63], s[12:13], -v[144:145]
	v_add_f64 v[150:151], v[0:1], v[150:151]
	v_fma_f64 v[136:137], v[68:69], s[8:9], -v[136:137]
	v_add_f64 v[132:133], v[142:143], v[132:133]
	v_add_f64 v[114:115], v[120:121], v[112:113]
	v_mul_f64 v[112:113], v[110:111], s[26:27]
	v_fma_f64 v[120:121], s[10:11], v[94:95], v[122:123]
	v_add_f64 v[126:127], v[126:127], v[130:131]
	v_mul_f64 v[130:131], v[102:103], s[28:29]
	v_fma_f64 v[142:143], v[66:67], s[16:17], -v[140:141]
	v_add_f64 v[146:147], v[146:147], v[150:151]
	v_fma_f64 v[128:129], v[70:71], s[12:13], -v[128:129]
	v_add_f64 v[136:137], v[2:3], v[136:137]
	v_fma_f64 v[118:119], s[6:7], v[100:101], v[112:113]
	v_add_f64 v[120:121], v[120:121], v[126:127]
	v_mul_f64 v[126:127], v[106:107], s[26:27]
	v_fma_f64 v[138:139], v[72:73], s[10:11], -v[130:131]
	v_add_f64 v[142:143], v[142:143], v[146:147]
	v_fma_f64 v[124:125], v[88:89], s[16:17], -v[124:125]
	v_add_f64 v[128:129], v[128:129], v[136:137]
	v_add_f64 v[120:121], v[118:119], v[120:121]
	v_fma_f64 v[118:119], v[90:91], s[6:7], -v[126:127]
	v_add_f64 v[138:139], v[138:139], v[142:143]
	v_fma_f64 v[122:123], v[94:95], s[10:11], -v[122:123]
	v_add_f64 v[124:125], v[124:125], v[128:129]
	v_add_f64 v[118:119], v[118:119], v[138:139]
	v_fma_f64 v[112:113], v[100:101], s[6:7], -v[112:113]
	v_add_f64 v[122:123], v[122:123], v[124:125]
	v_fmac_f64_e32 v[148:149], s[8:9], v[60:61]
	v_mul_f64 v[136:137], v[96:97], s[14:15]
	v_mul_f64 v[138:139], v[64:65], s[14:15]
	v_add_f64 v[124:125], v[112:113], v[122:123]
	v_fmac_f64_e32 v[144:145], s[12:13], v[62:63]
	v_add_f64 v[112:113], v[0:1], v[148:149]
	v_fma_f64 v[96:97], s[6:7], v[68:69], v[136:137]
	v_fma_f64 v[64:65], v[60:61], s[6:7], -v[138:139]
	v_fma_f64 v[68:69], v[68:69], s[6:7], -v[136:137]
	v_fmac_f64_e32 v[138:139], s[6:7], v[60:61]
	v_fmac_f64_e32 v[140:141], s[16:17], v[66:67]
	v_add_f64 v[112:113], v[144:145], v[112:113]
	v_add_f64 v[96:97], v[2:3], v[96:97]
	;; [unrolled: 1-line block ×7, first 2 shown]
	v_fmac_f64_e32 v[130:131], s[10:11], v[72:73]
	v_add_f64 v[112:113], v[140:141], v[112:113]
	v_add_f64 v[2:3], v[2:3], v[10:11]
	;; [unrolled: 1-line block ×4, first 2 shown]
	v_mul_f64 v[130:131], v[98:99], s[18:19]
	v_add_f64 v[2:3], v[2:3], v[14:15]
	v_add_f64 v[0:1], v[0:1], v[12:13]
	v_mul_f64 v[104:105], v[104:105], s[20:21]
	v_fma_f64 v[98:99], s[8:9], v[70:71], v[130:131]
	v_add_f64 v[2:3], v[2:3], v[18:19]
	v_add_f64 v[0:1], v[0:1], v[16:17]
	v_fmac_f64_e32 v[126:127], s[6:7], v[90:91]
	v_mul_f64 v[108:109], v[108:109], s[22:23]
	v_fma_f64 v[128:129], s[10:11], v[88:89], v[104:105]
	v_add_f64 v[96:97], v[98:99], v[96:97]
	v_mul_f64 v[74:75], v[74:75], s[18:19]
	v_add_f64 v[2:3], v[2:3], v[22:23]
	v_add_f64 v[0:1], v[0:1], v[20:21]
	;; [unrolled: 1-line block ×3, first 2 shown]
	v_mul_f64 v[110:111], v[110:111], s[24:25]
	v_fma_f64 v[126:127], s[12:13], v[94:95], v[108:109]
	v_add_f64 v[96:97], v[128:129], v[96:97]
	v_mul_f64 v[92:93], v[92:93], s[20:21]
	v_fma_f64 v[128:129], v[62:63], s[8:9], -v[74:75]
	v_add_f64 v[2:3], v[2:3], v[26:27]
	v_add_f64 v[0:1], v[0:1], v[24:25]
	v_fma_f64 v[112:113], s[16:17], v[100:101], v[110:111]
	v_add_f64 v[96:97], v[126:127], v[96:97]
	v_mul_f64 v[102:103], v[102:103], s[22:23]
	v_fma_f64 v[126:127], v[66:67], s[10:11], -v[92:93]
	v_add_f64 v[64:65], v[128:129], v[64:65]
	v_fma_f64 v[70:71], v[70:71], s[8:9], -v[130:131]
	v_fmac_f64_e32 v[74:75], s[8:9], v[62:63]
	v_add_f64 v[2:3], v[2:3], v[30:31]
	v_add_f64 v[0:1], v[0:1], v[28:29]
	;; [unrolled: 1-line block ×3, first 2 shown]
	v_mul_f64 v[106:107], v[106:107], s[24:25]
	v_fma_f64 v[112:113], v[72:73], s[12:13], -v[102:103]
	v_add_f64 v[64:65], v[126:127], v[64:65]
	v_fma_f64 v[88:89], v[88:89], s[10:11], -v[104:105]
	v_add_f64 v[68:69], v[70:71], v[68:69]
	v_fmac_f64_e32 v[92:93], s[10:11], v[66:67]
	v_add_f64 v[60:61], v[74:75], v[60:61]
	v_add_f64 v[2:3], v[2:3], v[34:35]
	;; [unrolled: 1-line block ×3, first 2 shown]
	v_mul_u32_u24_e32 v87, 0xb0, v78
	v_fma_f64 v[96:97], v[90:91], s[16:17], -v[106:107]
	v_add_f64 v[64:65], v[112:113], v[64:65]
	v_fma_f64 v[94:95], v[94:95], s[12:13], -v[108:109]
	v_add_f64 v[68:69], v[88:89], v[68:69]
	v_fmac_f64_e32 v[102:103], s[12:13], v[72:73]
	v_add_f64 v[60:61], v[92:93], v[60:61]
	v_add_f64 v[2:3], v[2:3], v[38:39]
	;; [unrolled: 1-line block ×4, first 2 shown]
	v_fma_f64 v[64:65], v[100:101], s[16:17], -v[110:111]
	v_add_f64 v[68:69], v[94:95], v[68:69]
	v_fmac_f64_e32 v[106:107], s[16:17], v[90:91]
	v_add_f64 v[60:61], v[102:103], v[60:61]
	v_add_f64 v[2:3], v[2:3], v[42:43]
	;; [unrolled: 1-line block ×3, first 2 shown]
	v_add_u32_e32 v4, 0, v87
	v_add_f64 v[64:65], v[64:65], v[68:69]
	v_add_f64 v[62:63], v[106:107], v[60:61]
	ds_write_b128 v4, v[0:3] offset:19360
	ds_write_b128 v4, v[62:65] offset:19376
	;; [unrolled: 1-line block ×11, first 2 shown]
.LBB0_21:
	s_or_b64 exec, exec, s[36:37]
	s_waitcnt lgkmcnt(0)
	s_barrier
	ds_read_b128 v[16:19], v152
	ds_read_b128 v[20:23], v152 offset:1760
	ds_read_b128 v[28:31], v152 offset:14960
	;; [unrolled: 1-line block ×3, first 2 shown]
	ds_read_b128 v[24:27], v79
	ds_read_b128 v[12:15], v83
	ds_read_b128 v[40:43], v152 offset:18480
	ds_read_b128 v[52:55], v152 offset:20240
	ds_read_b128 v[8:11], v81
	ds_read_b128 v[4:7], v85
	ds_read_b128 v[32:35], v152 offset:13200
	ds_read_b128 v[0:3], v152 offset:10560
	;; [unrolled: 1-line block ×4, first 2 shown]
	s_and_saveexec_b64 s[2:3], vcc
	s_cbranch_execz .LBB0_23
; %bb.22:
	ds_read_b128 v[44:47], v152 offset:12320
	ds_read_b128 v[48:51], v152 offset:25520
.LBB0_23:
	s_or_b64 exec, exec, s[2:3]
	s_movk_i32 s2, 0x75
	v_mul_lo_u16_sdwa v69, v78, s2 dst_sel:DWORD dst_unused:UNUSED_PAD src0_sel:BYTE_0 src1_sel:DWORD
	s_mov_b32 s6, 0xba2f
	v_sub_u16_sdwa v66, v78, v69 dst_sel:DWORD dst_unused:UNUSED_PAD src0_sel:DWORD src1_sel:BYTE_1
	v_mul_u32_u24_sdwa v68, v80, s6 dst_sel:DWORD dst_unused:UNUSED_PAD src0_sel:WORD_0 src1_sel:DWORD
	v_lshrrev_b16_e32 v66, 1, v66
	v_lshrrev_b32_e32 v118, 19, v68
	v_and_b32_e32 v74, 0x7f, v66
	v_mul_lo_u16_e32 v66, 11, v118
	v_mul_u32_u24_sdwa v67, v82, s6 dst_sel:DWORD dst_unused:UNUSED_PAD src0_sel:WORD_0 src1_sel:DWORD
	v_sub_u16_e32 v66, v80, v66
	v_lshrrev_b32_e32 v120, 19, v67
	v_lshlrev_b32_e32 v119, 4, v66
	v_mul_lo_u16_e32 v66, 11, v120
	v_sub_u16_e32 v66, v82, v66
	v_lshlrev_b32_e32 v121, 4, v66
	v_mul_u32_u24_sdwa v66, v84, s6 dst_sel:DWORD dst_unused:UNUSED_PAD src0_sel:WORD_0 src1_sel:DWORD
	v_lshrrev_b32_e32 v122, 19, v66
	v_mul_lo_u16_e32 v75, 11, v122
	v_sub_u16_e32 v75, v84, v75
	v_lshlrev_b32_e32 v123, 4, v75
	v_mul_u32_u24_sdwa v75, v86, s6 dst_sel:DWORD dst_unused:UNUSED_PAD src0_sel:WORD_0 src1_sel:DWORD
	v_lshrrev_b32_e32 v124, 19, v75
	v_mul_lo_u16_e32 v75, 11, v124
	v_add_u32_e32 v65, 0x294, v78
	v_sub_u16_e32 v75, v86, v75
	v_lshlrev_b32_e32 v125, 4, v75
	v_mul_u32_u24_sdwa v75, v65, s6 dst_sel:DWORD dst_unused:UNUSED_PAD src0_sel:WORD_0 src1_sel:DWORD
	v_lshrrev_b32_e32 v126, 19, v75
	v_mul_lo_u16_e32 v75, 11, v126
	v_sub_u16_e32 v65, v65, v75
	v_lshlrev_b32_e32 v127, 4, v65
	v_add_u16_sdwa v65, v74, v69 dst_sel:DWORD dst_unused:UNUSED_PAD src0_sel:DWORD src1_sel:BYTE_1
	v_lshrrev_b16_e32 v69, 3, v65
	v_mul_lo_u16_e32 v65, 11, v69
	v_add_u32_e32 v64, 0x6e, v78
	v_sub_u16_e32 v74, v78, v65
	v_mov_b32_e32 v65, 4
	v_lshlrev_b32_sdwa v128, v65, v74 dst_sel:DWORD dst_unused:UNUSED_PAD src0_sel:DWORD src1_sel:BYTE_0
	v_mul_lo_u16_sdwa v74, v64, s2 dst_sel:DWORD dst_unused:UNUSED_PAD src0_sel:BYTE_0 src1_sel:DWORD
	v_sub_u16_sdwa v75, v64, v74 dst_sel:DWORD dst_unused:UNUSED_PAD src0_sel:DWORD src1_sel:BYTE_1
	v_lshrrev_b16_e32 v75, 1, v75
	v_and_b32_e32 v75, 0x7f, v75
	v_add_u16_sdwa v74, v75, v74 dst_sel:DWORD dst_unused:UNUSED_PAD src0_sel:DWORD src1_sel:BYTE_1
	v_lshrrev_b16_e32 v129, 3, v74
	v_mul_lo_u16_e32 v74, 11, v129
	global_load_dwordx4 v[70:73], v119, s[4:5]
	global_load_dwordx4 v[88:91], v121, s[4:5]
	v_sub_u16_e32 v74, v64, v74
	global_load_dwordx4 v[92:95], v123, s[4:5]
	global_load_dwordx4 v[96:99], v125, s[4:5]
	global_load_dwordx4 v[100:103], v127, s[4:5]
	global_load_dwordx4 v[104:107], v128, s[4:5]
	v_lshlrev_b32_sdwa v130, v65, v74 dst_sel:DWORD dst_unused:UNUSED_PAD src0_sel:DWORD src1_sel:BYTE_0
	global_load_dwordx4 v[108:111], v130, s[4:5]
	v_mul_u32_u24_e32 v69, 0x160, v69
	v_add3_u32 v69, 0, v69, v128
	s_waitcnt lgkmcnt(0)
	s_barrier
	s_mov_b32 s8, 0x5040100
	s_movk_i32 s2, 0x160
	s_waitcnt vmcnt(6)
	v_mul_f64 v[74:75], v[38:39], v[72:73]
	s_waitcnt vmcnt(5)
	v_mul_f64 v[86:87], v[42:43], v[90:91]
	;; [unrolled: 2-line block ×3, first 2 shown]
	v_mul_f64 v[90:91], v[40:41], v[90:91]
	v_mul_f64 v[94:95], v[52:53], v[94:95]
	s_waitcnt vmcnt(3)
	v_mul_f64 v[114:115], v[62:63], v[98:99]
	v_mul_f64 v[98:99], v[60:61], v[98:99]
	s_waitcnt vmcnt(2)
	v_mul_f64 v[116:117], v[58:59], v[102:103]
	v_mul_f64 v[102:103], v[56:57], v[102:103]
	v_fmac_f64_e32 v[86:87], v[40:41], v[88:89]
	v_fmac_f64_e32 v[112:113], v[52:53], v[92:93]
	s_waitcnt vmcnt(1)
	v_mul_f64 v[40:41], v[34:35], v[106:107]
	v_mul_f64 v[52:53], v[32:33], v[106:107]
	v_fmac_f64_e32 v[114:115], v[60:61], v[96:97]
	v_fma_f64 v[60:61], v[62:63], v[96:97], -v[98:99]
	v_fmac_f64_e32 v[116:117], v[56:57], v[100:101]
	v_fma_f64 v[62:63], v[58:59], v[100:101], -v[102:103]
	s_waitcnt vmcnt(0)
	v_mul_f64 v[56:57], v[30:31], v[110:111]
	v_mul_f64 v[58:59], v[28:29], v[110:111]
	v_fmac_f64_e32 v[40:41], v[32:33], v[104:105]
	v_fma_f64 v[32:33], v[34:35], v[104:105], -v[52:53]
	v_fmac_f64_e32 v[56:57], v[28:29], v[108:109]
	v_fma_f64 v[34:35], v[30:31], v[108:109], -v[58:59]
	v_add_f64 v[28:29], v[16:17], -v[40:41]
	v_add_f64 v[30:31], v[18:19], -v[32:33]
	v_fma_f64 v[16:17], v[16:17], 2.0, -v[28:29]
	v_fma_f64 v[18:19], v[18:19], 2.0, -v[30:31]
	v_add_f64 v[32:33], v[20:21], -v[56:57]
	v_add_f64 v[34:35], v[22:23], -v[34:35]
	ds_write_b128 v69, v[16:19]
	ds_write_b128 v69, v[28:31] offset:176
	v_mul_u32_u24_e32 v16, 0x160, v129
	v_fma_f64 v[20:21], v[20:21], 2.0, -v[32:33]
	v_fma_f64 v[22:23], v[22:23], 2.0, -v[34:35]
	v_add3_u32 v16, 0, v16, v130
	v_mul_f64 v[72:73], v[36:37], v[72:73]
	ds_write_b128 v16, v[20:23]
	ds_write_b128 v16, v[32:35] offset:176
	v_perm_b32 v16, v120, v118, s8
	v_fmac_f64_e32 v[74:75], v[36:37], v[70:71]
	v_fma_f64 v[38:39], v[38:39], v[70:71], -v[72:73]
	v_fma_f64 v[42:43], v[42:43], v[88:89], -v[90:91]
	v_pk_mul_lo_u16 v16, v16, s2 op_sel_hi:[1,0]
	v_add_f64 v[36:37], v[24:25], -v[74:75]
	v_add_f64 v[38:39], v[26:27], -v[38:39]
	;; [unrolled: 1-line block ×4, first 2 shown]
	v_and_b32_e32 v17, 0xffe0, v16
	v_lshrrev_b32_e32 v16, 16, v16
	v_fma_f64 v[24:25], v[24:25], 2.0, -v[36:37]
	v_fma_f64 v[26:27], v[26:27], 2.0, -v[38:39]
	;; [unrolled: 1-line block ×4, first 2 shown]
	v_add3_u32 v17, 0, v17, v119
	v_add3_u32 v16, 0, v16, v121
	ds_write_b128 v17, v[24:27]
	ds_write_b128 v17, v[36:39] offset:176
	ds_write_b128 v16, v[12:15]
	ds_write_b128 v16, v[40:43] offset:176
	v_perm_b32 v12, v124, v122, s8
	v_fma_f64 v[54:55], v[54:55], v[92:93], -v[94:95]
	v_pk_mul_lo_u16 v12, v12, s2 op_sel_hi:[1,0]
	v_add_f64 v[52:53], v[8:9], -v[112:113]
	v_add_f64 v[54:55], v[10:11], -v[54:55]
	v_and_b32_e32 v13, 0xffe0, v12
	v_fma_f64 v[8:9], v[8:9], 2.0, -v[52:53]
	v_fma_f64 v[10:11], v[10:11], 2.0, -v[54:55]
	v_add3_u32 v13, 0, v13, v123
	v_add_f64 v[56:57], v[4:5], -v[114:115]
	v_add_f64 v[58:59], v[6:7], -v[60:61]
	ds_write_b128 v13, v[8:11]
	ds_write_b128 v13, v[52:55] offset:176
	v_lshrrev_b32_e32 v8, 16, v12
	v_fma_f64 v[4:5], v[4:5], 2.0, -v[56:57]
	v_fma_f64 v[6:7], v[6:7], 2.0, -v[58:59]
	v_add3_u32 v8, 0, v8, v125
	v_add_f64 v[60:61], v[0:1], -v[116:117]
	v_add_f64 v[62:63], v[2:3], -v[62:63]
	ds_write_b128 v8, v[4:7]
	ds_write_b128 v8, v[56:59] offset:176
	v_mul_u32_u24_e32 v4, 0x160, v126
	v_fma_f64 v[0:1], v[0:1], 2.0, -v[60:61]
	v_fma_f64 v[2:3], v[2:3], 2.0, -v[62:63]
	v_add3_u32 v4, 0, v4, v127
	ds_write_b128 v4, v[0:3]
	ds_write_b128 v4, v[60:63] offset:176
	s_and_saveexec_b64 s[2:3], vcc
	s_cbranch_execz .LBB0_25
; %bb.24:
	v_add_u32_e32 v0, 0x302, v78
	v_mul_u32_u24_sdwa v1, v0, s6 dst_sel:DWORD dst_unused:UNUSED_PAD src0_sel:WORD_0 src1_sel:DWORD
	v_lshrrev_b32_e32 v4, 19, v1
	v_mul_lo_u16_e32 v1, 11, v4
	v_sub_u16_e32 v0, v0, v1
	v_lshlrev_b32_e32 v5, 4, v0
	global_load_dwordx4 v[0:3], v5, s[4:5]
	v_mul_lo_u16_e32 v4, 22, v4
	v_lshlrev_b32_e32 v4, 4, v4
	v_add3_u32 v8, 0, v5, v4
	s_waitcnt vmcnt(0)
	v_mul_f64 v[4:5], v[48:49], v[2:3]
	v_mul_f64 v[6:7], v[50:51], v[2:3]
	v_fma_f64 v[2:3], v[50:51], v[0:1], -v[4:5]
	v_fmac_f64_e32 v[6:7], v[48:49], v[0:1]
	v_add_f64 v[2:3], v[46:47], -v[2:3]
	v_add_f64 v[0:1], v[44:45], -v[6:7]
	v_fma_f64 v[6:7], v[46:47], 2.0, -v[2:3]
	v_fma_f64 v[4:5], v[44:45], 2.0, -v[0:1]
	ds_write_b128 v8, v[4:7]
	ds_write_b128 v8, v[0:3] offset:176
.LBB0_25:
	s_or_b64 exec, exec, s[2:3]
	v_lshrrev_b16_e32 v0, 1, v78
	v_and_b32_e32 v0, 0x7f, v0
	v_mul_lo_u16_e32 v0, 0xbb, v0
	v_lshrrev_b32_e32 v121, 20, v68
	v_lshrrev_b16_e32 v120, 11, v0
	v_mul_lo_u16_e32 v0, 22, v121
	v_sub_u16_e32 v122, v80, v0
	v_lshlrev_b32_e32 v0, 5, v122
	v_lshrrev_b32_e32 v123, 20, v67
	s_waitcnt lgkmcnt(0)
	s_barrier
	global_load_dwordx4 v[16:19], v0, s[4:5] offset:192
	global_load_dwordx4 v[20:23], v0, s[4:5] offset:176
	v_mul_lo_u16_e32 v0, 22, v123
	v_sub_u16_e32 v82, v82, v0
	v_lshlrev_b32_e32 v0, 5, v82
	v_lshrrev_b32_e32 v124, 20, v66
	global_load_dwordx4 v[24:27], v0, s[4:5] offset:192
	global_load_dwordx4 v[28:31], v0, s[4:5] offset:176
	v_mul_lo_u16_e32 v0, 22, v124
	v_mul_lo_u16_e32 v1, 22, v120
	v_sub_u16_e32 v125, v84, v0
	v_sub_u16_e32 v126, v78, v1
	v_mov_b32_e32 v1, 5
	v_lshlrev_b32_e32 v0, 5, v125
	v_lshlrev_b32_sdwa v2, v1, v126 dst_sel:DWORD dst_unused:UNUSED_PAD src0_sel:DWORD src1_sel:BYTE_0
	global_load_dwordx4 v[32:35], v0, s[4:5] offset:176
	global_load_dwordx4 v[36:39], v2, s[4:5] offset:192
	;; [unrolled: 1-line block ×3, first 2 shown]
	v_mov_b32_e32 v2, 1
	v_lshrrev_b16_sdwa v2, v2, v64 dst_sel:DWORD dst_unused:UNUSED_PAD src0_sel:DWORD src1_sel:BYTE_0
	v_mul_lo_u16_e32 v2, 0xbb, v2
	v_lshrrev_b16_e32 v127, 11, v2
	v_mul_lo_u16_e32 v2, 22, v127
	v_sub_u16_e32 v128, v64, v2
	v_lshlrev_b32_sdwa v1, v1, v128 dst_sel:DWORD dst_unused:UNUSED_PAD src0_sel:DWORD src1_sel:BYTE_0
	global_load_dwordx4 v[44:47], v1, s[4:5] offset:176
	global_load_dwordx4 v[48:51], v1, s[4:5] offset:192
	;; [unrolled: 1-line block ×3, first 2 shown]
	ds_read_b128 v[56:59], v85
	ds_read_b128 v[60:63], v152
	ds_read_b128 v[12:15], v152 offset:1760
	ds_read_b128 v[66:69], v152 offset:17600
	;; [unrolled: 1-line block ×7, first 2 shown]
	ds_read_b128 v[4:7], v83
	ds_read_b128 v[0:3], v81
	ds_read_b128 v[100:103], v152 offset:14080
	ds_read_b128 v[104:107], v152 offset:15840
	ds_read_b128 v[8:11], v79
	ds_read_b128 v[108:111], v152 offset:24640
	s_mov_b32 s2, 0xe8584caa
	s_mov_b32 s3, 0xbfebb67a
	;; [unrolled: 1-line block ×4, first 2 shown]
	s_waitcnt lgkmcnt(0)
	s_barrier
	s_mov_b32 s11, 0x3fee6f0e
	s_mov_b32 s13, 0x3fe2cf23
	s_movk_i32 s14, 0x41
	s_movk_i32 s16, 0x1000
	s_waitcnt vmcnt(9)
	v_mul_f64 v[112:113], v[94:95], v[18:19]
	s_waitcnt vmcnt(8)
	v_mul_f64 v[74:75], v[90:91], v[22:23]
	v_mul_f64 v[22:23], v[88:89], v[22:23]
	;; [unrolled: 1-line block ×3, first 2 shown]
	v_fmac_f64_e32 v[74:75], v[88:89], v[20:21]
	s_waitcnt vmcnt(7)
	v_mul_f64 v[116:117], v[98:99], v[26:27]
	v_mul_f64 v[26:27], v[96:97], v[26:27]
	s_waitcnt vmcnt(6)
	v_mul_f64 v[114:115], v[102:103], v[30:31]
	v_mul_f64 v[30:31], v[100:101], v[30:31]
	v_fma_f64 v[88:89], v[90:91], v[20:21], -v[22:23]
	v_fmac_f64_e32 v[112:113], v[92:93], v[16:17]
	v_fma_f64 v[90:91], v[94:95], v[16:17], -v[18:19]
	v_fmac_f64_e32 v[116:117], v[96:97], v[24:25]
	v_fma_f64 v[94:95], v[98:99], v[24:25], -v[26:27]
	s_waitcnt vmcnt(4)
	v_mul_f64 v[24:25], v[68:69], v[38:39]
	s_waitcnt vmcnt(3)
	v_mul_f64 v[22:23], v[58:59], v[42:43]
	v_mul_f64 v[16:17], v[56:57], v[42:43]
	v_fmac_f64_e32 v[114:115], v[100:101], v[28:29]
	v_fma_f64 v[92:93], v[102:103], v[28:29], -v[30:31]
	v_mul_f64 v[18:19], v[66:67], v[38:39]
	v_fmac_f64_e32 v[22:23], v[56:57], v[40:41]
	v_fma_f64 v[28:29], v[58:59], v[40:41], -v[16:17]
	v_fmac_f64_e32 v[24:25], v[66:67], v[36:37]
	v_mul_f64 v[16:17], v[104:105], v[34:35]
	s_waitcnt vmcnt(2)
	v_mul_f64 v[30:31], v[86:87], v[46:47]
	s_waitcnt vmcnt(1)
	v_mul_f64 v[38:39], v[72:73], v[50:51]
	v_mul_f64 v[26:27], v[70:71], v[50:51]
	v_fma_f64 v[36:37], v[68:69], v[36:37], -v[18:19]
	v_fma_f64 v[56:57], v[106:107], v[32:33], -v[16:17]
	s_waitcnt vmcnt(0)
	v_mul_f64 v[16:17], v[108:109], v[54:55]
	v_add_f64 v[18:19], v[22:23], v[24:25]
	v_mul_f64 v[20:21], v[84:85], v[46:47]
	v_fmac_f64_e32 v[30:31], v[84:85], v[44:45]
	v_fmac_f64_e32 v[38:39], v[70:71], v[48:49]
	v_fma_f64 v[42:43], v[72:73], v[48:49], -v[26:27]
	v_mul_f64 v[58:59], v[110:111], v[54:55]
	v_fma_f64 v[54:55], v[110:111], v[52:53], -v[16:17]
	v_add_f64 v[16:17], v[60:61], v[22:23]
	v_fmac_f64_e32 v[60:61], -0.5, v[18:19]
	v_add_f64 v[18:19], v[28:29], -v[36:37]
	v_add_f64 v[26:27], v[28:29], v[36:37]
	v_mul_f64 v[118:119], v[106:107], v[34:35]
	v_fma_f64 v[40:41], v[86:87], v[44:45], -v[20:21]
	v_add_f64 v[16:17], v[16:17], v[24:25]
	v_fma_f64 v[20:21], s[2:3], v[18:19], v[60:61]
	v_fmac_f64_e32 v[60:61], s[6:7], v[18:19]
	v_add_f64 v[18:19], v[62:63], v[28:29]
	v_fmac_f64_e32 v[62:63], -0.5, v[26:27]
	v_add_f64 v[24:25], v[22:23], -v[24:25]
	v_add_f64 v[26:27], v[30:31], v[38:39]
	v_fmac_f64_e32 v[118:119], v[104:105], v[32:33]
	v_fma_f64 v[22:23], s[6:7], v[24:25], v[62:63]
	v_fmac_f64_e32 v[62:63], s[2:3], v[24:25]
	v_add_f64 v[24:25], v[12:13], v[30:31]
	v_fmac_f64_e32 v[12:13], -0.5, v[26:27]
	v_add_f64 v[26:27], v[40:41], -v[42:43]
	v_add_f64 v[32:33], v[40:41], v[42:43]
	v_fma_f64 v[28:29], s[2:3], v[26:27], v[12:13]
	v_fmac_f64_e32 v[12:13], s[6:7], v[26:27]
	v_add_f64 v[26:27], v[14:15], v[40:41]
	v_fmac_f64_e32 v[14:15], -0.5, v[32:33]
	v_add_f64 v[32:33], v[30:31], -v[38:39]
	v_add_f64 v[34:35], v[74:75], v[112:113]
	v_add_f64 v[24:25], v[24:25], v[38:39]
	v_fma_f64 v[30:31], s[6:7], v[32:33], v[14:15]
	v_fmac_f64_e32 v[14:15], s[2:3], v[32:33]
	v_add_f64 v[32:33], v[8:9], v[74:75]
	v_fmac_f64_e32 v[8:9], -0.5, v[34:35]
	v_add_f64 v[34:35], v[88:89], -v[90:91]
	v_add_f64 v[38:39], v[88:89], v[90:91]
	v_add_f64 v[18:19], v[18:19], v[36:37]
	;; [unrolled: 1-line block ×3, first 2 shown]
	v_fma_f64 v[36:37], s[2:3], v[34:35], v[8:9]
	v_fmac_f64_e32 v[8:9], s[6:7], v[34:35]
	v_add_f64 v[34:35], v[10:11], v[88:89]
	v_fmac_f64_e32 v[10:11], -0.5, v[38:39]
	v_add_f64 v[40:41], v[74:75], -v[112:113]
	v_add_f64 v[42:43], v[114:115], v[116:117]
	v_fmac_f64_e32 v[58:59], v[108:109], v[52:53]
	v_fma_f64 v[38:39], s[6:7], v[40:41], v[10:11]
	v_fmac_f64_e32 v[10:11], s[2:3], v[40:41]
	v_add_f64 v[40:41], v[4:5], v[114:115]
	v_fmac_f64_e32 v[4:5], -0.5, v[42:43]
	v_add_f64 v[42:43], v[92:93], -v[94:95]
	v_add_f64 v[46:47], v[92:93], v[94:95]
	v_fma_f64 v[44:45], s[2:3], v[42:43], v[4:5]
	v_fmac_f64_e32 v[4:5], s[6:7], v[42:43]
	v_add_f64 v[42:43], v[6:7], v[92:93]
	v_fmac_f64_e32 v[6:7], -0.5, v[46:47]
	v_add_f64 v[48:49], v[114:115], -v[116:117]
	v_add_f64 v[50:51], v[118:119], v[58:59]
	v_fma_f64 v[46:47], s[6:7], v[48:49], v[6:7]
	v_fmac_f64_e32 v[6:7], s[2:3], v[48:49]
	v_add_f64 v[48:49], v[0:1], v[118:119]
	v_fmac_f64_e32 v[0:1], -0.5, v[50:51]
	v_add_f64 v[50:51], v[56:57], -v[54:55]
	v_fma_f64 v[52:53], s[2:3], v[50:51], v[0:1]
	v_fmac_f64_e32 v[0:1], s[6:7], v[50:51]
	v_add_f64 v[50:51], v[2:3], v[56:57]
	v_add_f64 v[50:51], v[50:51], v[54:55]
	;; [unrolled: 1-line block ×3, first 2 shown]
	v_fmac_f64_e32 v[2:3], -0.5, v[54:55]
	v_add_f64 v[56:57], v[118:119], -v[58:59]
	v_fma_f64 v[54:55], s[6:7], v[56:57], v[2:3]
	v_fmac_f64_e32 v[2:3], s[2:3], v[56:57]
	v_mul_u32_u24_e32 v56, 0x420, v120
	v_lshlrev_b32_sdwa v57, v65, v126 dst_sel:DWORD dst_unused:UNUSED_PAD src0_sel:DWORD src1_sel:BYTE_0
	v_add3_u32 v56, 0, v56, v57
	ds_write_b128 v56, v[16:19]
	ds_write_b128 v56, v[20:23] offset:352
	ds_write_b128 v56, v[60:63] offset:704
	v_mul_u32_u24_e32 v16, 0x420, v127
	v_lshlrev_b32_sdwa v17, v65, v128 dst_sel:DWORD dst_unused:UNUSED_PAD src0_sel:DWORD src1_sel:BYTE_0
	v_add3_u32 v16, 0, v16, v17
	s_movk_i32 s2, 0x420
	ds_write_b128 v16, v[24:27]
	ds_write_b128 v16, v[28:31] offset:352
	ds_write_b128 v16, v[12:15] offset:704
	v_perm_b32 v12, v123, v121, s8
	v_pk_mul_lo_u16 v12, v12, s2 op_sel_hi:[1,0]
	v_lshlrev_b32_e32 v14, 4, v122
	v_and_b32_e32 v13, 0xffe0, v12
	v_add_f64 v[32:33], v[32:33], v[112:113]
	v_add_f64 v[34:35], v[34:35], v[90:91]
	v_add3_u32 v13, 0, v13, v14
	ds_write_b128 v13, v[32:35]
	ds_write_b128 v13, v[36:39] offset:352
	ds_write_b128 v13, v[8:11] offset:704
	v_lshrrev_b32_e32 v8, 16, v12
	v_lshlrev_b32_e32 v9, 4, v82
	v_add_f64 v[40:41], v[40:41], v[116:117]
	v_add_f64 v[42:43], v[42:43], v[94:95]
	v_add3_u32 v8, 0, v8, v9
	ds_write_b128 v8, v[40:43]
	ds_write_b128 v8, v[44:47] offset:352
	ds_write_b128 v8, v[4:7] offset:704
	v_mul_u32_u24_e32 v4, 0x420, v124
	v_lshlrev_b32_e32 v5, 4, v125
	v_add_f64 v[48:49], v[48:49], v[58:59]
	v_add3_u32 v4, 0, v4, v5
	s_movk_i32 s2, 0x42
	ds_write_b128 v4, v[48:51]
	ds_write_b128 v4, v[52:55] offset:352
	ds_write_b128 v4, v[0:3] offset:704
	v_add_u32_e32 v0, 0xffffffbe, v78
	v_cmp_gt_u32_e32 vcc, s2, v78
	v_mov_b32_e32 v29, 0
	s_movk_i32 s2, 0xf9
	v_cndmask_b32_e32 v46, v0, v78, vcc
	v_lshlrev_b32_e32 v28, 2, v46
	v_lshl_add_u64 v[0:1], v[28:29], 4, s[4:5]
	s_waitcnt lgkmcnt(0)
	s_barrier
	global_load_dwordx4 v[12:15], v[0:1], off offset:880
	global_load_dwordx4 v[16:19], v[0:1], off offset:896
	;; [unrolled: 1-line block ×4, first 2 shown]
	v_mul_lo_u16_sdwa v0, v64, s2 dst_sel:DWORD dst_unused:UNUSED_PAD src0_sel:BYTE_0 src1_sel:DWORD
	v_lshrrev_b16_e32 v28, 14, v0
	v_mul_lo_u16_e32 v0, 0x42, v28
	v_sub_u16_e32 v47, v64, v0
	v_mov_b32_e32 v0, 6
	v_lshlrev_b32_sdwa v0, v0, v47 dst_sel:DWORD dst_unused:UNUSED_PAD src0_sel:DWORD src1_sel:BYTE_0
	s_mov_b32 s2, 0xf83f
	global_load_dwordx4 v[30:33], v0, s[4:5] offset:880
	global_load_dwordx4 v[34:37], v0, s[4:5] offset:896
	;; [unrolled: 1-line block ×4, first 2 shown]
	v_mul_u32_u24_sdwa v0, v80, s2 dst_sel:DWORD dst_unused:UNUSED_PAD src0_sel:WORD_0 src1_sel:DWORD
	v_lshrrev_b32_e32 v81, 22, v0
	v_mul_lo_u16_e32 v0, 0x42, v81
	v_sub_u16_e32 v82, v80, v0
	v_lshlrev_b32_e32 v0, 6, v82
	global_load_dwordx4 v[48:51], v0, s[4:5] offset:880
	global_load_dwordx4 v[52:55], v0, s[4:5] offset:896
	global_load_dwordx4 v[56:59], v0, s[4:5] offset:912
	global_load_dwordx4 v[60:63], v0, s[4:5] offset:928
	ds_read_b128 v[66:69], v83
	ds_read_b128 v[8:11], v152
	ds_read_b128 v[4:7], v152 offset:1760
	ds_read_b128 v[70:73], v152 offset:10560
	;; [unrolled: 1-line block ×11, first 2 shown]
	ds_read_b128 v[0:3], v79
	ds_read_b128 v[120:123], v152 offset:24640
	s_mov_b32 s6, 0x134454ff
	s_mov_b32 s7, 0xbfee6f0e
	;; [unrolled: 1-line block ×8, first 2 shown]
	v_cmp_lt_u32_e32 vcc, s14, v78
	s_waitcnt lgkmcnt(0)
	s_barrier
	s_mov_b64 s[14:15], 0x13f0
	s_waitcnt vmcnt(11)
	v_mul_f64 v[74:75], v[68:69], v[14:15]
	v_mul_f64 v[14:15], v[66:67], v[14:15]
	v_fmac_f64_e32 v[74:75], v[66:67], v[12:13]
	v_fma_f64 v[66:67], v[68:69], v[12:13], -v[14:15]
	s_waitcnt vmcnt(10)
	v_mul_f64 v[68:69], v[72:73], v[18:19]
	v_mul_f64 v[12:13], v[70:71], v[18:19]
	v_fmac_f64_e32 v[68:69], v[70:71], v[16:17]
	v_fma_f64 v[70:71], v[72:73], v[16:17], -v[12:13]
	s_waitcnt vmcnt(8)
	v_mul_f64 v[72:73], v[106:107], v[26:27]
	v_mul_f64 v[12:13], v[104:105], v[26:27]
	v_fmac_f64_e32 v[72:73], v[104:105], v[24:25]
	v_fma_f64 v[104:105], v[106:107], v[24:25], -v[12:13]
	v_mul_f64 v[26:27], v[90:91], v[22:23]
	v_mul_f64 v[12:13], v[88:89], v[22:23]
	v_fmac_f64_e32 v[26:27], v[88:89], v[20:21]
	v_fma_f64 v[88:89], v[90:91], v[20:21], -v[12:13]
	s_waitcnt vmcnt(7)
	v_mul_f64 v[90:91], v[98:99], v[32:33]
	v_mul_f64 v[12:13], v[96:97], v[32:33]
	v_fmac_f64_e32 v[90:91], v[96:97], v[30:31]
	v_fma_f64 v[96:97], v[98:99], v[30:31], -v[12:13]
	s_waitcnt vmcnt(6)
	;; [unrolled: 5-line block ×5, first 2 shown]
	v_mul_f64 v[12:13], v[100:101], v[50:51]
	v_fma_f64 v[30:31], v[102:103], v[48:49], -v[12:13]
	s_waitcnt vmcnt(2)
	v_mul_f64 v[12:13], v[108:109], v[54:55]
	v_fma_f64 v[32:33], v[110:111], v[52:53], -v[12:13]
	s_waitcnt vmcnt(1)
	;; [unrolled: 3-line block ×3, first 2 shown]
	v_mul_f64 v[12:13], v[120:121], v[62:63]
	v_fma_f64 v[36:37], v[122:123], v[60:61], -v[12:13]
	v_add_f64 v[12:13], v[8:9], v[74:75]
	v_add_f64 v[12:13], v[12:13], v[68:69]
	;; [unrolled: 1-line block ×5, first 2 shown]
	v_fma_f64 v[12:13], -0.5, v[12:13], v[8:9]
	v_add_f64 v[14:15], v[66:67], -v[88:89]
	v_fma_f64 v[20:21], s[6:7], v[14:15], v[12:13]
	v_add_f64 v[18:19], v[70:71], -v[104:105]
	v_add_f64 v[22:23], v[74:75], -v[68:69]
	;; [unrolled: 1-line block ×3, first 2 shown]
	v_fmac_f64_e32 v[12:13], s[10:11], v[14:15]
	v_fmac_f64_e32 v[20:21], s[2:3], v[18:19]
	v_add_f64 v[22:23], v[22:23], v[24:25]
	v_fmac_f64_e32 v[12:13], s[12:13], v[18:19]
	v_fmac_f64_e32 v[20:21], s[8:9], v[22:23]
	;; [unrolled: 1-line block ×3, first 2 shown]
	v_add_f64 v[22:23], v[74:75], v[26:27]
	v_fmac_f64_e32 v[8:9], -0.5, v[22:23]
	v_fma_f64 v[24:25], s[10:11], v[18:19], v[8:9]
	v_fmac_f64_e32 v[8:9], s[6:7], v[18:19]
	v_fmac_f64_e32 v[24:25], s[2:3], v[14:15]
	;; [unrolled: 1-line block ×3, first 2 shown]
	v_add_f64 v[14:15], v[10:11], v[66:67]
	v_add_f64 v[14:15], v[14:15], v[70:71]
	v_mul_f64 v[38:39], v[102:103], v[50:51]
	v_add_f64 v[14:15], v[14:15], v[104:105]
	v_fmac_f64_e32 v[38:39], v[100:101], v[48:49]
	v_add_f64 v[22:23], v[68:69], -v[74:75]
	v_add_f64 v[48:49], v[72:73], -v[26:27]
	v_add_f64 v[18:19], v[14:15], v[88:89]
	v_add_f64 v[14:15], v[70:71], v[104:105]
	v_mul_f64 v[40:41], v[110:111], v[54:55]
	v_add_f64 v[22:23], v[22:23], v[48:49]
	v_fma_f64 v[14:15], -0.5, v[14:15], v[10:11]
	v_add_f64 v[48:49], v[74:75], -v[26:27]
	v_fmac_f64_e32 v[40:41], v[108:109], v[52:53]
	v_fmac_f64_e32 v[24:25], s[8:9], v[22:23]
	;; [unrolled: 1-line block ×3, first 2 shown]
	v_fma_f64 v[22:23], s[10:11], v[48:49], v[14:15]
	v_add_f64 v[50:51], v[68:69], -v[72:73]
	v_add_f64 v[26:27], v[66:67], -v[70:71]
	;; [unrolled: 1-line block ×3, first 2 shown]
	v_fmac_f64_e32 v[14:15], s[6:7], v[48:49]
	v_fmac_f64_e32 v[22:23], s[12:13], v[50:51]
	v_add_f64 v[26:27], v[26:27], v[52:53]
	v_fmac_f64_e32 v[14:15], s[2:3], v[50:51]
	v_fmac_f64_e32 v[22:23], s[8:9], v[26:27]
	;; [unrolled: 1-line block ×3, first 2 shown]
	v_add_f64 v[26:27], v[66:67], v[88:89]
	v_fmac_f64_e32 v[10:11], -0.5, v[26:27]
	v_fma_f64 v[26:27], s[6:7], v[50:51], v[10:11]
	v_add_f64 v[52:53], v[70:71], -v[66:67]
	v_add_f64 v[54:55], v[104:105], -v[88:89]
	v_fmac_f64_e32 v[10:11], s[10:11], v[50:51]
	v_fmac_f64_e32 v[26:27], s[12:13], v[48:49]
	v_add_f64 v[52:53], v[52:53], v[54:55]
	v_fmac_f64_e32 v[10:11], s[2:3], v[48:49]
	v_add_f64 v[50:51], v[98:99], v[86:87]
	v_mul_f64 v[42:43], v[118:119], v[58:59]
	v_mul_f64 v[44:45], v[122:123], v[62:63]
	v_fmac_f64_e32 v[26:27], s[8:9], v[52:53]
	v_fmac_f64_e32 v[10:11], s[8:9], v[52:53]
	v_fma_f64 v[52:53], -0.5, v[50:51], v[4:5]
	v_add_f64 v[50:51], v[96:97], -v[92:93]
	v_fmac_f64_e32 v[42:43], v[116:117], v[56:57]
	v_fmac_f64_e32 v[44:45], v[120:121], v[60:61]
	v_fma_f64 v[56:57], s[6:7], v[50:51], v[52:53]
	v_add_f64 v[54:55], v[84:85], -v[106:107]
	v_add_f64 v[58:59], v[90:91], -v[98:99]
	;; [unrolled: 1-line block ×3, first 2 shown]
	v_fmac_f64_e32 v[52:53], s[10:11], v[50:51]
	v_fmac_f64_e32 v[56:57], s[2:3], v[54:55]
	v_add_f64 v[58:59], v[58:59], v[60:61]
	v_fmac_f64_e32 v[52:53], s[12:13], v[54:55]
	v_fmac_f64_e32 v[56:57], s[8:9], v[58:59]
	;; [unrolled: 1-line block ×3, first 2 shown]
	v_add_f64 v[58:59], v[90:91], v[112:113]
	v_add_f64 v[48:49], v[4:5], v[90:91]
	v_fmac_f64_e32 v[4:5], -0.5, v[58:59]
	v_fma_f64 v[60:61], s[10:11], v[54:55], v[4:5]
	v_add_f64 v[58:59], v[98:99], -v[90:91]
	v_add_f64 v[62:63], v[86:87], -v[112:113]
	v_fmac_f64_e32 v[4:5], s[6:7], v[54:55]
	v_add_f64 v[54:55], v[84:85], v[106:107]
	v_fmac_f64_e32 v[60:61], s[2:3], v[50:51]
	v_add_f64 v[58:59], v[58:59], v[62:63]
	v_fmac_f64_e32 v[4:5], s[12:13], v[50:51]
	v_fma_f64 v[54:55], -0.5, v[54:55], v[6:7]
	v_add_f64 v[66:67], v[90:91], -v[112:113]
	v_fmac_f64_e32 v[60:61], s[8:9], v[58:59]
	v_fmac_f64_e32 v[4:5], s[8:9], v[58:59]
	v_fma_f64 v[58:59], s[10:11], v[66:67], v[54:55]
	v_add_f64 v[68:69], v[98:99], -v[86:87]
	v_add_f64 v[62:63], v[96:97], -v[84:85]
	;; [unrolled: 1-line block ×3, first 2 shown]
	v_fmac_f64_e32 v[54:55], s[6:7], v[66:67]
	v_fmac_f64_e32 v[58:59], s[12:13], v[68:69]
	v_add_f64 v[62:63], v[62:63], v[70:71]
	v_fmac_f64_e32 v[54:55], s[2:3], v[68:69]
	v_fmac_f64_e32 v[58:59], s[8:9], v[62:63]
	;; [unrolled: 1-line block ×3, first 2 shown]
	v_add_f64 v[62:63], v[96:97], v[92:93]
	v_add_f64 v[50:51], v[6:7], v[96:97]
	v_fmac_f64_e32 v[6:7], -0.5, v[62:63]
	v_fma_f64 v[62:63], s[6:7], v[68:69], v[6:7]
	v_add_f64 v[70:71], v[84:85], -v[96:97]
	v_add_f64 v[72:73], v[106:107], -v[92:93]
	v_fmac_f64_e32 v[6:7], s[10:11], v[68:69]
	v_fmac_f64_e32 v[62:63], s[12:13], v[66:67]
	v_add_f64 v[70:71], v[70:71], v[72:73]
	v_fmac_f64_e32 v[6:7], s[2:3], v[66:67]
	v_add_f64 v[68:69], v[40:41], v[42:43]
	v_add_f64 v[48:49], v[48:49], v[98:99]
	v_fmac_f64_e32 v[62:63], s[8:9], v[70:71]
	v_fmac_f64_e32 v[6:7], s[8:9], v[70:71]
	v_fma_f64 v[70:71], -0.5, v[68:69], v[0:1]
	v_add_f64 v[68:69], v[30:31], -v[36:37]
	v_add_f64 v[48:49], v[48:49], v[86:87]
	v_add_f64 v[50:51], v[50:51], v[84:85]
	v_fma_f64 v[84:85], s[6:7], v[68:69], v[70:71]
	v_add_f64 v[72:73], v[32:33], -v[34:35]
	v_add_f64 v[74:75], v[38:39], -v[40:41]
	;; [unrolled: 1-line block ×3, first 2 shown]
	v_fmac_f64_e32 v[70:71], s[10:11], v[68:69]
	v_fmac_f64_e32 v[84:85], s[2:3], v[72:73]
	v_add_f64 v[74:75], v[74:75], v[86:87]
	v_fmac_f64_e32 v[70:71], s[12:13], v[72:73]
	v_fmac_f64_e32 v[84:85], s[8:9], v[74:75]
	;; [unrolled: 1-line block ×3, first 2 shown]
	v_add_f64 v[74:75], v[38:39], v[44:45]
	v_add_f64 v[66:67], v[0:1], v[38:39]
	v_fmac_f64_e32 v[0:1], -0.5, v[74:75]
	v_add_f64 v[66:67], v[66:67], v[40:41]
	v_fma_f64 v[88:89], s[10:11], v[72:73], v[0:1]
	v_fmac_f64_e32 v[0:1], s[6:7], v[72:73]
	v_add_f64 v[72:73], v[32:33], v[34:35]
	v_add_f64 v[66:67], v[66:67], v[42:43]
	v_add_f64 v[74:75], v[40:41], -v[38:39]
	v_add_f64 v[86:87], v[42:43], -v[44:45]
	v_fma_f64 v[72:73], -0.5, v[72:73], v[2:3]
	v_add_f64 v[38:39], v[38:39], -v[44:45]
	v_add_f64 v[66:67], v[66:67], v[44:45]
	v_add_f64 v[74:75], v[74:75], v[86:87]
	v_fma_f64 v[86:87], s[10:11], v[38:39], v[72:73]
	v_add_f64 v[40:41], v[40:41], -v[42:43]
	v_add_f64 v[42:43], v[30:31], -v[32:33]
	;; [unrolled: 1-line block ×3, first 2 shown]
	v_fmac_f64_e32 v[72:73], s[6:7], v[38:39]
	v_fmac_f64_e32 v[86:87], s[12:13], v[40:41]
	v_add_f64 v[42:43], v[42:43], v[44:45]
	v_fmac_f64_e32 v[72:73], s[2:3], v[40:41]
	v_fmac_f64_e32 v[86:87], s[8:9], v[42:43]
	;; [unrolled: 1-line block ×3, first 2 shown]
	v_add_f64 v[42:43], v[30:31], v[36:37]
	v_fmac_f64_e32 v[88:89], s[2:3], v[68:69]
	v_fmac_f64_e32 v[0:1], s[12:13], v[68:69]
	v_add_f64 v[68:69], v[2:3], v[30:31]
	v_fmac_f64_e32 v[2:3], -0.5, v[42:43]
	v_add_f64 v[68:69], v[68:69], v[32:33]
	v_fma_f64 v[90:91], s[6:7], v[40:41], v[2:3]
	v_add_f64 v[30:31], v[32:33], -v[30:31]
	v_add_f64 v[32:33], v[34:35], -v[36:37]
	v_fmac_f64_e32 v[2:3], s[10:11], v[40:41]
	v_fmac_f64_e32 v[90:91], s[12:13], v[38:39]
	v_add_f64 v[30:31], v[30:31], v[32:33]
	v_fmac_f64_e32 v[2:3], s[2:3], v[38:39]
	v_fmac_f64_e32 v[90:91], s[8:9], v[30:31]
	;; [unrolled: 1-line block ×3, first 2 shown]
	v_mov_b32_e32 v30, 0x14a0
	v_cndmask_b32_e32 v30, 0, v30, vcc
	v_lshlrev_b32_e32 v31, 4, v46
	v_add3_u32 v30, 0, v30, v31
	v_add_f64 v[50:51], v[50:51], v[106:107]
	ds_write_b128 v30, v[16:19]
	ds_write_b128 v30, v[20:23] offset:1056
	ds_write_b128 v30, v[24:27] offset:2112
	;; [unrolled: 1-line block ×4, first 2 shown]
	v_mul_u32_u24_e32 v8, 0x14a0, v28
	v_lshlrev_b32_sdwa v9, v65, v47 dst_sel:DWORD dst_unused:UNUSED_PAD src0_sel:DWORD src1_sel:BYTE_0
	v_add_f64 v[48:49], v[48:49], v[112:113]
	v_add_f64 v[50:51], v[50:51], v[92:93]
	v_add3_u32 v8, 0, v8, v9
	v_add_f64 v[68:69], v[68:69], v[34:35]
	ds_write_b128 v8, v[48:51]
	ds_write_b128 v8, v[56:59] offset:1056
	ds_write_b128 v8, v[60:63] offset:2112
	ds_write_b128 v8, v[4:7] offset:3168
	ds_write_b128 v8, v[52:55] offset:4224
	v_mul_u32_u24_e32 v4, 0x14a0, v81
	v_lshlrev_b32_e32 v5, 4, v82
	v_fmac_f64_e32 v[0:1], s[8:9], v[74:75]
	v_add_f64 v[68:69], v[68:69], v[36:37]
	v_add3_u32 v4, 0, v4, v5
	v_lshlrev_b32_e32 v28, 2, v78
	v_fmac_f64_e32 v[88:89], s[8:9], v[74:75]
	ds_write_b128 v4, v[66:69]
	ds_write_b128 v4, v[84:87] offset:1056
	ds_write_b128 v4, v[88:91] offset:2112
	;; [unrolled: 1-line block ×4, first 2 shown]
	v_lshl_add_u64 v[0:1], v[28:29], 4, s[4:5]
	v_add_co_u32_e32 v2, vcc, s16, v0
	s_waitcnt lgkmcnt(0)
	s_nop 0
	v_addc_co_u32_e32 v3, vcc, 0, v1, vcc
	s_barrier
	global_load_dwordx4 v[12:15], v[2:3], off offset:1008
	v_lshl_add_u64 v[0:1], v[0:1], 0, s[14:15]
	v_lshlrev_b32_e32 v28, 2, v64
	global_load_dwordx4 v[16:19], v[0:1], off offset:16
	global_load_dwordx4 v[20:23], v[0:1], off offset:32
	;; [unrolled: 1-line block ×3, first 2 shown]
	v_lshl_add_u64 v[0:1], v[28:29], 4, s[4:5]
	v_add_co_u32_e32 v2, vcc, s16, v0
	v_lshlrev_b32_e32 v28, 2, v80
	s_nop 0
	v_addc_co_u32_e32 v3, vcc, 0, v1, vcc
	global_load_dwordx4 v[30:33], v[2:3], off offset:1008
	v_lshl_add_u64 v[0:1], v[0:1], 0, s[14:15]
	global_load_dwordx4 v[34:37], v[0:1], off offset:16
	global_load_dwordx4 v[38:41], v[0:1], off offset:32
	;; [unrolled: 1-line block ×3, first 2 shown]
	v_lshl_add_u64 v[0:1], v[28:29], 4, s[4:5]
	v_add_co_u32_e32 v2, vcc, s16, v0
	s_nop 1
	v_addc_co_u32_e32 v3, vcc, 0, v1, vcc
	global_load_dwordx4 v[46:49], v[2:3], off offset:1008
	v_lshl_add_u64 v[0:1], v[0:1], 0, s[14:15]
	global_load_dwordx4 v[50:53], v[0:1], off offset:16
	global_load_dwordx4 v[54:57], v[0:1], off offset:32
	global_load_dwordx4 v[58:61], v[0:1], off offset:48
	ds_read_b128 v[62:65], v83
	ds_read_b128 v[8:11], v152
	ds_read_b128 v[4:7], v152 offset:1760
	ds_read_b128 v[66:69], v152 offset:10560
	;; [unrolled: 1-line block ×11, first 2 shown]
	ds_read_b128 v[0:3], v79
	ds_read_b128 v[112:115], v152 offset:24640
	s_waitcnt lgkmcnt(0)
	s_barrier
	s_waitcnt vmcnt(11)
	v_mul_f64 v[74:75], v[64:65], v[14:15]
	v_mul_f64 v[14:15], v[62:63], v[14:15]
	v_fmac_f64_e32 v[74:75], v[62:63], v[12:13]
	v_fma_f64 v[62:63], v[64:65], v[12:13], -v[14:15]
	s_waitcnt vmcnt(10)
	v_mul_f64 v[64:65], v[68:69], v[18:19]
	v_mul_f64 v[12:13], v[66:67], v[18:19]
	v_fmac_f64_e32 v[64:65], v[66:67], v[16:17]
	v_fma_f64 v[66:67], v[68:69], v[16:17], -v[12:13]
	;; [unrolled: 5-line block ×8, first 2 shown]
	s_waitcnt vmcnt(3)
	v_mul_f64 v[12:13], v[92:93], v[48:49]
	v_fma_f64 v[30:31], v[94:95], v[46:47], -v[12:13]
	s_waitcnt vmcnt(2)
	v_mul_f64 v[12:13], v[100:101], v[52:53]
	v_fma_f64 v[32:33], v[102:103], v[50:51], -v[12:13]
	;; [unrolled: 3-line block ×4, first 2 shown]
	v_add_f64 v[12:13], v[8:9], v[74:75]
	v_add_f64 v[12:13], v[12:13], v[64:65]
	;; [unrolled: 1-line block ×5, first 2 shown]
	v_fma_f64 v[12:13], -0.5, v[12:13], v[8:9]
	v_add_f64 v[14:15], v[62:63], -v[80:81]
	v_fma_f64 v[20:21], s[6:7], v[14:15], v[12:13]
	v_add_f64 v[18:19], v[66:67], -v[96:97]
	v_add_f64 v[24:25], v[74:75], -v[64:65]
	;; [unrolled: 1-line block ×3, first 2 shown]
	v_fmac_f64_e32 v[12:13], s[10:11], v[14:15]
	v_fmac_f64_e32 v[20:21], s[2:3], v[18:19]
	v_add_f64 v[24:25], v[24:25], v[26:27]
	v_fmac_f64_e32 v[12:13], s[12:13], v[18:19]
	v_fmac_f64_e32 v[20:21], s[8:9], v[24:25]
	;; [unrolled: 1-line block ×3, first 2 shown]
	v_add_f64 v[24:25], v[74:75], v[22:23]
	v_fmac_f64_e32 v[8:9], -0.5, v[24:25]
	v_fma_f64 v[24:25], s[10:11], v[18:19], v[8:9]
	v_fmac_f64_e32 v[8:9], s[6:7], v[18:19]
	v_fmac_f64_e32 v[24:25], s[2:3], v[14:15]
	;; [unrolled: 1-line block ×3, first 2 shown]
	v_add_f64 v[14:15], v[10:11], v[62:63]
	v_add_f64 v[14:15], v[14:15], v[66:67]
	v_mul_f64 v[38:39], v[94:95], v[48:49]
	v_add_f64 v[14:15], v[14:15], v[96:97]
	v_fmac_f64_e32 v[38:39], v[92:93], v[46:47]
	v_add_f64 v[26:27], v[64:65], -v[74:75]
	v_add_f64 v[46:47], v[68:69], -v[22:23]
	v_add_f64 v[18:19], v[14:15], v[80:81]
	v_add_f64 v[14:15], v[66:67], v[96:97]
	v_mul_f64 v[40:41], v[102:103], v[52:53]
	v_add_f64 v[26:27], v[26:27], v[46:47]
	v_fma_f64 v[14:15], -0.5, v[14:15], v[10:11]
	v_add_f64 v[46:47], v[74:75], -v[22:23]
	v_fmac_f64_e32 v[40:41], v[100:101], v[50:51]
	v_fmac_f64_e32 v[24:25], s[8:9], v[26:27]
	;; [unrolled: 1-line block ×3, first 2 shown]
	v_fma_f64 v[22:23], s[10:11], v[46:47], v[14:15]
	v_add_f64 v[48:49], v[64:65], -v[68:69]
	v_add_f64 v[26:27], v[62:63], -v[66:67]
	v_add_f64 v[50:51], v[80:81], -v[96:97]
	v_fmac_f64_e32 v[14:15], s[6:7], v[46:47]
	v_fmac_f64_e32 v[22:23], s[12:13], v[48:49]
	v_add_f64 v[26:27], v[26:27], v[50:51]
	v_fmac_f64_e32 v[14:15], s[2:3], v[48:49]
	v_fmac_f64_e32 v[22:23], s[8:9], v[26:27]
	;; [unrolled: 1-line block ×3, first 2 shown]
	v_add_f64 v[26:27], v[62:63], v[80:81]
	v_fmac_f64_e32 v[10:11], -0.5, v[26:27]
	v_fma_f64 v[26:27], s[6:7], v[48:49], v[10:11]
	v_add_f64 v[50:51], v[66:67], -v[62:63]
	v_add_f64 v[52:53], v[96:97], -v[80:81]
	v_fmac_f64_e32 v[10:11], s[10:11], v[48:49]
	v_fmac_f64_e32 v[26:27], s[12:13], v[46:47]
	v_add_f64 v[50:51], v[50:51], v[52:53]
	v_fmac_f64_e32 v[10:11], s[2:3], v[46:47]
	v_add_f64 v[48:49], v[90:91], v[72:73]
	v_mul_f64 v[42:43], v[110:111], v[56:57]
	v_mul_f64 v[44:45], v[114:115], v[60:61]
	v_fmac_f64_e32 v[26:27], s[8:9], v[50:51]
	v_fmac_f64_e32 v[10:11], s[8:9], v[50:51]
	v_fma_f64 v[50:51], -0.5, v[48:49], v[4:5]
	v_add_f64 v[48:49], v[88:89], -v[84:85]
	v_fmac_f64_e32 v[42:43], v[108:109], v[54:55]
	v_fmac_f64_e32 v[44:45], v[112:113], v[58:59]
	v_fma_f64 v[54:55], s[6:7], v[48:49], v[50:51]
	v_add_f64 v[52:53], v[70:71], -v[98:99]
	v_add_f64 v[56:57], v[82:83], -v[90:91]
	;; [unrolled: 1-line block ×3, first 2 shown]
	v_fmac_f64_e32 v[50:51], s[10:11], v[48:49]
	v_fmac_f64_e32 v[54:55], s[2:3], v[52:53]
	v_add_f64 v[56:57], v[56:57], v[58:59]
	v_fmac_f64_e32 v[50:51], s[12:13], v[52:53]
	v_fmac_f64_e32 v[54:55], s[8:9], v[56:57]
	;; [unrolled: 1-line block ×3, first 2 shown]
	v_add_f64 v[56:57], v[82:83], v[104:105]
	v_add_f64 v[46:47], v[4:5], v[82:83]
	v_fmac_f64_e32 v[4:5], -0.5, v[56:57]
	v_fma_f64 v[58:59], s[10:11], v[52:53], v[4:5]
	v_add_f64 v[56:57], v[90:91], -v[82:83]
	v_add_f64 v[60:61], v[72:73], -v[104:105]
	v_fmac_f64_e32 v[4:5], s[6:7], v[52:53]
	v_add_f64 v[52:53], v[70:71], v[98:99]
	v_fmac_f64_e32 v[58:59], s[2:3], v[48:49]
	v_add_f64 v[56:57], v[56:57], v[60:61]
	v_fmac_f64_e32 v[4:5], s[12:13], v[48:49]
	v_fma_f64 v[52:53], -0.5, v[52:53], v[6:7]
	v_add_f64 v[62:63], v[82:83], -v[104:105]
	v_fmac_f64_e32 v[58:59], s[8:9], v[56:57]
	v_fmac_f64_e32 v[4:5], s[8:9], v[56:57]
	v_fma_f64 v[56:57], s[10:11], v[62:63], v[52:53]
	v_add_f64 v[64:65], v[90:91], -v[72:73]
	v_add_f64 v[60:61], v[88:89], -v[70:71]
	;; [unrolled: 1-line block ×3, first 2 shown]
	v_fmac_f64_e32 v[52:53], s[6:7], v[62:63]
	v_fmac_f64_e32 v[56:57], s[12:13], v[64:65]
	v_add_f64 v[60:61], v[60:61], v[66:67]
	v_fmac_f64_e32 v[52:53], s[2:3], v[64:65]
	v_fmac_f64_e32 v[56:57], s[8:9], v[60:61]
	;; [unrolled: 1-line block ×3, first 2 shown]
	v_add_f64 v[60:61], v[88:89], v[84:85]
	v_add_f64 v[48:49], v[6:7], v[88:89]
	v_fmac_f64_e32 v[6:7], -0.5, v[60:61]
	v_fma_f64 v[60:61], s[6:7], v[64:65], v[6:7]
	v_add_f64 v[66:67], v[70:71], -v[88:89]
	v_add_f64 v[68:69], v[98:99], -v[84:85]
	v_fmac_f64_e32 v[6:7], s[10:11], v[64:65]
	v_fmac_f64_e32 v[60:61], s[12:13], v[62:63]
	v_add_f64 v[66:67], v[66:67], v[68:69]
	v_fmac_f64_e32 v[6:7], s[2:3], v[62:63]
	v_add_f64 v[64:65], v[40:41], v[42:43]
	v_add_f64 v[46:47], v[46:47], v[90:91]
	v_fmac_f64_e32 v[60:61], s[8:9], v[66:67]
	v_fmac_f64_e32 v[6:7], s[8:9], v[66:67]
	v_fma_f64 v[66:67], -0.5, v[64:65], v[0:1]
	v_add_f64 v[64:65], v[30:31], -v[36:37]
	v_add_f64 v[46:47], v[46:47], v[72:73]
	v_add_f64 v[48:49], v[48:49], v[70:71]
	v_fma_f64 v[70:71], s[6:7], v[64:65], v[66:67]
	v_add_f64 v[68:69], v[32:33], -v[34:35]
	v_add_f64 v[72:73], v[38:39], -v[40:41]
	;; [unrolled: 1-line block ×3, first 2 shown]
	v_fmac_f64_e32 v[66:67], s[10:11], v[64:65]
	v_fmac_f64_e32 v[70:71], s[2:3], v[68:69]
	v_add_f64 v[72:73], v[72:73], v[74:75]
	v_fmac_f64_e32 v[66:67], s[12:13], v[68:69]
	v_fmac_f64_e32 v[70:71], s[8:9], v[72:73]
	;; [unrolled: 1-line block ×3, first 2 shown]
	v_add_f64 v[72:73], v[38:39], v[44:45]
	v_add_f64 v[62:63], v[0:1], v[38:39]
	v_fmac_f64_e32 v[0:1], -0.5, v[72:73]
	v_add_f64 v[62:63], v[62:63], v[40:41]
	v_fma_f64 v[80:81], s[10:11], v[68:69], v[0:1]
	v_add_f64 v[72:73], v[40:41], -v[38:39]
	v_add_f64 v[74:75], v[42:43], -v[44:45]
	v_fmac_f64_e32 v[0:1], s[6:7], v[68:69]
	v_add_f64 v[68:69], v[32:33], v[34:35]
	v_add_f64 v[62:63], v[62:63], v[42:43]
	v_fmac_f64_e32 v[80:81], s[2:3], v[64:65]
	v_add_f64 v[72:73], v[72:73], v[74:75]
	v_fmac_f64_e32 v[0:1], s[12:13], v[64:65]
	v_fma_f64 v[68:69], -0.5, v[68:69], v[2:3]
	v_add_f64 v[38:39], v[38:39], -v[44:45]
	v_add_f64 v[62:63], v[62:63], v[44:45]
	v_fmac_f64_e32 v[80:81], s[8:9], v[72:73]
	v_fmac_f64_e32 v[0:1], s[8:9], v[72:73]
	v_fma_f64 v[72:73], s[10:11], v[38:39], v[68:69]
	v_add_f64 v[40:41], v[40:41], -v[42:43]
	v_add_f64 v[42:43], v[30:31], -v[32:33]
	;; [unrolled: 1-line block ×3, first 2 shown]
	v_fmac_f64_e32 v[68:69], s[6:7], v[38:39]
	v_fmac_f64_e32 v[72:73], s[12:13], v[40:41]
	v_add_f64 v[42:43], v[42:43], v[44:45]
	v_fmac_f64_e32 v[68:69], s[2:3], v[40:41]
	v_fmac_f64_e32 v[72:73], s[8:9], v[42:43]
	;; [unrolled: 1-line block ×3, first 2 shown]
	v_add_f64 v[42:43], v[30:31], v[36:37]
	v_add_f64 v[64:65], v[2:3], v[30:31]
	v_fmac_f64_e32 v[2:3], -0.5, v[42:43]
	v_add_f64 v[64:65], v[64:65], v[32:33]
	v_fma_f64 v[82:83], s[6:7], v[40:41], v[2:3]
	v_add_f64 v[30:31], v[32:33], -v[30:31]
	v_add_f64 v[32:33], v[34:35], -v[36:37]
	v_fmac_f64_e32 v[2:3], s[10:11], v[40:41]
	v_add_f64 v[48:49], v[48:49], v[98:99]
	v_add_f64 v[64:65], v[64:65], v[34:35]
	v_fmac_f64_e32 v[82:83], s[12:13], v[38:39]
	v_add_f64 v[30:31], v[30:31], v[32:33]
	v_fmac_f64_e32 v[2:3], s[2:3], v[38:39]
	v_add_f64 v[46:47], v[46:47], v[104:105]
	v_add_f64 v[48:49], v[48:49], v[84:85]
	;; [unrolled: 1-line block ×3, first 2 shown]
	v_fmac_f64_e32 v[82:83], s[8:9], v[30:31]
	v_fmac_f64_e32 v[2:3], s[8:9], v[30:31]
	ds_write_b128 v152, v[16:19]
	ds_write_b128 v152, v[20:23] offset:5280
	ds_write_b128 v152, v[24:27] offset:10560
	;; [unrolled: 1-line block ×9, first 2 shown]
	ds_write_b128 v79, v[62:65]
	ds_write_b128 v79, v[70:73] offset:5280
	ds_write_b128 v79, v[80:83] offset:10560
	;; [unrolled: 1-line block ×4, first 2 shown]
	s_waitcnt lgkmcnt(0)
	s_barrier
	s_and_saveexec_b64 s[2:3], s[0:1]
	s_cbranch_execz .LBB0_27
; %bb.26:
	v_lshl_add_u32 v10, v78, 4, 0
	ds_read_b128 v[0:3], v10
	ds_read_b128 v[4:7], v10 offset:1760
	v_mov_b32_e32 v79, v29
	v_lshl_add_u64 v[8:9], v[78:79], 4, v[76:77]
	v_add_u32_e32 v28, 0x6e, v78
	s_waitcnt lgkmcnt(1)
	global_store_dwordx4 v[8:9], v[0:3], off
	ds_read_b128 v[0:3], v10 offset:3520
	v_lshl_add_u64 v[8:9], v[28:29], 4, v[76:77]
	v_add_u32_e32 v28, 0xdc, v78
	s_waitcnt lgkmcnt(1)
	global_store_dwordx4 v[8:9], v[4:7], off
	ds_read_b128 v[4:7], v10 offset:5280
	v_lshl_add_u64 v[8:9], v[28:29], 4, v[76:77]
	s_waitcnt lgkmcnt(1)
	global_store_dwordx4 v[8:9], v[0:3], off
	ds_read_b128 v[0:3], v10 offset:7040
	v_add_u32_e32 v28, 0x14a, v78
	v_lshl_add_u64 v[8:9], v[28:29], 4, v[76:77]
	v_add_u32_e32 v28, 0x1b8, v78
	s_waitcnt lgkmcnt(1)
	global_store_dwordx4 v[8:9], v[4:7], off
	ds_read_b128 v[4:7], v10 offset:8800
	v_lshl_add_u64 v[8:9], v[28:29], 4, v[76:77]
	s_waitcnt lgkmcnt(1)
	global_store_dwordx4 v[8:9], v[0:3], off
	ds_read_b128 v[0:3], v10 offset:10560
	v_add_u32_e32 v28, 0x226, v78
	;; [unrolled: 10-line block ×6, first 2 shown]
	v_lshl_add_u64 v[8:9], v[28:29], 4, v[76:77]
	v_add_u32_e32 v28, 0x604, v78
	s_waitcnt lgkmcnt(1)
	global_store_dwordx4 v[8:9], v[4:7], off
	s_nop 1
	v_lshl_add_u64 v[4:5], v[28:29], 4, v[76:77]
	s_waitcnt lgkmcnt(0)
	global_store_dwordx4 v[4:5], v[0:3], off
.LBB0_27:
	s_endpgm
	.section	.rodata,"a",@progbits
	.p2align	6, 0x0
	.amdhsa_kernel fft_rtc_back_len1650_factors_11_2_3_5_5_wgs_110_tpt_110_halfLds_dp_ip_CI_unitstride_sbrr_C2R_dirReg
		.amdhsa_group_segment_fixed_size 0
		.amdhsa_private_segment_fixed_size 0
		.amdhsa_kernarg_size 88
		.amdhsa_user_sgpr_count 2
		.amdhsa_user_sgpr_dispatch_ptr 0
		.amdhsa_user_sgpr_queue_ptr 0
		.amdhsa_user_sgpr_kernarg_segment_ptr 1
		.amdhsa_user_sgpr_dispatch_id 0
		.amdhsa_user_sgpr_kernarg_preload_length 0
		.amdhsa_user_sgpr_kernarg_preload_offset 0
		.amdhsa_user_sgpr_private_segment_size 0
		.amdhsa_uses_dynamic_stack 0
		.amdhsa_enable_private_segment 0
		.amdhsa_system_sgpr_workgroup_id_x 1
		.amdhsa_system_sgpr_workgroup_id_y 0
		.amdhsa_system_sgpr_workgroup_id_z 0
		.amdhsa_system_sgpr_workgroup_info 0
		.amdhsa_system_vgpr_workitem_id 0
		.amdhsa_next_free_vgpr 172
		.amdhsa_next_free_sgpr 38
		.amdhsa_accum_offset 172
		.amdhsa_reserve_vcc 1
		.amdhsa_float_round_mode_32 0
		.amdhsa_float_round_mode_16_64 0
		.amdhsa_float_denorm_mode_32 3
		.amdhsa_float_denorm_mode_16_64 3
		.amdhsa_dx10_clamp 1
		.amdhsa_ieee_mode 1
		.amdhsa_fp16_overflow 0
		.amdhsa_tg_split 0
		.amdhsa_exception_fp_ieee_invalid_op 0
		.amdhsa_exception_fp_denorm_src 0
		.amdhsa_exception_fp_ieee_div_zero 0
		.amdhsa_exception_fp_ieee_overflow 0
		.amdhsa_exception_fp_ieee_underflow 0
		.amdhsa_exception_fp_ieee_inexact 0
		.amdhsa_exception_int_div_zero 0
	.end_amdhsa_kernel
	.text
.Lfunc_end0:
	.size	fft_rtc_back_len1650_factors_11_2_3_5_5_wgs_110_tpt_110_halfLds_dp_ip_CI_unitstride_sbrr_C2R_dirReg, .Lfunc_end0-fft_rtc_back_len1650_factors_11_2_3_5_5_wgs_110_tpt_110_halfLds_dp_ip_CI_unitstride_sbrr_C2R_dirReg
                                        ; -- End function
	.section	.AMDGPU.csdata,"",@progbits
; Kernel info:
; codeLenInByte = 15676
; NumSgprs: 44
; NumVgprs: 172
; NumAgprs: 0
; TotalNumVgprs: 172
; ScratchSize: 0
; MemoryBound: 0
; FloatMode: 240
; IeeeMode: 1
; LDSByteSize: 0 bytes/workgroup (compile time only)
; SGPRBlocks: 5
; VGPRBlocks: 21
; NumSGPRsForWavesPerEU: 44
; NumVGPRsForWavesPerEU: 172
; AccumOffset: 172
; Occupancy: 2
; WaveLimiterHint : 1
; COMPUTE_PGM_RSRC2:SCRATCH_EN: 0
; COMPUTE_PGM_RSRC2:USER_SGPR: 2
; COMPUTE_PGM_RSRC2:TRAP_HANDLER: 0
; COMPUTE_PGM_RSRC2:TGID_X_EN: 1
; COMPUTE_PGM_RSRC2:TGID_Y_EN: 0
; COMPUTE_PGM_RSRC2:TGID_Z_EN: 0
; COMPUTE_PGM_RSRC2:TIDIG_COMP_CNT: 0
; COMPUTE_PGM_RSRC3_GFX90A:ACCUM_OFFSET: 42
; COMPUTE_PGM_RSRC3_GFX90A:TG_SPLIT: 0
	.text
	.p2alignl 6, 3212836864
	.fill 256, 4, 3212836864
	.type	__hip_cuid_4a4ebb5fe91cb9ff,@object ; @__hip_cuid_4a4ebb5fe91cb9ff
	.section	.bss,"aw",@nobits
	.globl	__hip_cuid_4a4ebb5fe91cb9ff
__hip_cuid_4a4ebb5fe91cb9ff:
	.byte	0                               ; 0x0
	.size	__hip_cuid_4a4ebb5fe91cb9ff, 1

	.ident	"AMD clang version 19.0.0git (https://github.com/RadeonOpenCompute/llvm-project roc-6.4.0 25133 c7fe45cf4b819c5991fe208aaa96edf142730f1d)"
	.section	".note.GNU-stack","",@progbits
	.addrsig
	.addrsig_sym __hip_cuid_4a4ebb5fe91cb9ff
	.amdgpu_metadata
---
amdhsa.kernels:
  - .agpr_count:     0
    .args:
      - .actual_access:  read_only
        .address_space:  global
        .offset:         0
        .size:           8
        .value_kind:     global_buffer
      - .offset:         8
        .size:           8
        .value_kind:     by_value
      - .actual_access:  read_only
        .address_space:  global
        .offset:         16
        .size:           8
        .value_kind:     global_buffer
      - .actual_access:  read_only
        .address_space:  global
        .offset:         24
        .size:           8
        .value_kind:     global_buffer
      - .offset:         32
        .size:           8
        .value_kind:     by_value
      - .actual_access:  read_only
        .address_space:  global
        .offset:         40
        .size:           8
        .value_kind:     global_buffer
      - .actual_access:  read_only
        .address_space:  global
        .offset:         48
        .size:           8
        .value_kind:     global_buffer
      - .offset:         56
        .size:           4
        .value_kind:     by_value
      - .actual_access:  read_only
        .address_space:  global
        .offset:         64
        .size:           8
        .value_kind:     global_buffer
      - .actual_access:  read_only
        .address_space:  global
        .offset:         72
        .size:           8
        .value_kind:     global_buffer
      - .address_space:  global
        .offset:         80
        .size:           8
        .value_kind:     global_buffer
    .group_segment_fixed_size: 0
    .kernarg_segment_align: 8
    .kernarg_segment_size: 88
    .language:       OpenCL C
    .language_version:
      - 2
      - 0
    .max_flat_workgroup_size: 110
    .name:           fft_rtc_back_len1650_factors_11_2_3_5_5_wgs_110_tpt_110_halfLds_dp_ip_CI_unitstride_sbrr_C2R_dirReg
    .private_segment_fixed_size: 0
    .sgpr_count:     44
    .sgpr_spill_count: 0
    .symbol:         fft_rtc_back_len1650_factors_11_2_3_5_5_wgs_110_tpt_110_halfLds_dp_ip_CI_unitstride_sbrr_C2R_dirReg.kd
    .uniform_work_group_size: 1
    .uses_dynamic_stack: false
    .vgpr_count:     172
    .vgpr_spill_count: 0
    .wavefront_size: 64
amdhsa.target:   amdgcn-amd-amdhsa--gfx950
amdhsa.version:
  - 1
  - 2
...

	.end_amdgpu_metadata
